;; amdgpu-corpus repo=ROCm/rocFFT kind=compiled arch=gfx1201 opt=O3
	.text
	.amdgcn_target "amdgcn-amd-amdhsa--gfx1201"
	.amdhsa_code_object_version 6
	.protected	fft_rtc_back_len1683_factors_17_3_11_3_wgs_51_tpt_51_halfLds_sp_ip_CI_sbrr_dirReg ; -- Begin function fft_rtc_back_len1683_factors_17_3_11_3_wgs_51_tpt_51_halfLds_sp_ip_CI_sbrr_dirReg
	.globl	fft_rtc_back_len1683_factors_17_3_11_3_wgs_51_tpt_51_halfLds_sp_ip_CI_sbrr_dirReg
	.p2align	8
	.type	fft_rtc_back_len1683_factors_17_3_11_3_wgs_51_tpt_51_halfLds_sp_ip_CI_sbrr_dirReg,@function
fft_rtc_back_len1683_factors_17_3_11_3_wgs_51_tpt_51_halfLds_sp_ip_CI_sbrr_dirReg: ; @fft_rtc_back_len1683_factors_17_3_11_3_wgs_51_tpt_51_halfLds_sp_ip_CI_sbrr_dirReg
; %bb.0:
	s_clause 0x2
	s_load_b64 s[12:13], s[0:1], 0x18
	s_load_b128 s[4:7], s[0:1], 0x0
	s_load_b64 s[10:11], s[0:1], 0x50
	v_mul_u32_u24_e32 v1, 0x506, v0
	v_mov_b32_e32 v3, 0
	s_delay_alu instid0(VALU_DEP_2) | instskip(NEXT) | instid1(VALU_DEP_1)
	v_lshrrev_b32_e32 v1, 16, v1
	v_add_nc_u32_e32 v5, ttmp9, v1
	v_mov_b32_e32 v1, 0
	v_mov_b32_e32 v2, 0
	;; [unrolled: 1-line block ×3, first 2 shown]
	s_wait_kmcnt 0x0
	s_load_b64 s[8:9], s[12:13], 0x0
	v_cmp_lt_u64_e64 s2, s[6:7], 2
	s_delay_alu instid0(VALU_DEP_1)
	s_and_b32 vcc_lo, exec_lo, s2
	s_cbranch_vccnz .LBB0_8
; %bb.1:
	s_load_b64 s[2:3], s[0:1], 0x10
	v_mov_b32_e32 v1, 0
	v_mov_b32_e32 v2, 0
	s_add_nc_u64 s[14:15], s[12:13], 8
	s_mov_b64 s[16:17], 1
	s_wait_kmcnt 0x0
	s_add_nc_u64 s[18:19], s[2:3], 8
	s_mov_b32 s3, 0
.LBB0_2:                                ; =>This Inner Loop Header: Depth=1
	s_load_b64 s[20:21], s[18:19], 0x0
                                        ; implicit-def: $vgpr7_vgpr8
	s_mov_b32 s2, exec_lo
	s_wait_kmcnt 0x0
	v_or_b32_e32 v4, s21, v6
	s_delay_alu instid0(VALU_DEP_1)
	v_cmpx_ne_u64_e32 0, v[3:4]
	s_wait_alu 0xfffe
	s_xor_b32 s22, exec_lo, s2
	s_cbranch_execz .LBB0_4
; %bb.3:                                ;   in Loop: Header=BB0_2 Depth=1
	s_cvt_f32_u32 s2, s20
	s_cvt_f32_u32 s23, s21
	s_sub_nc_u64 s[26:27], 0, s[20:21]
	s_wait_alu 0xfffe
	s_delay_alu instid0(SALU_CYCLE_1) | instskip(SKIP_1) | instid1(SALU_CYCLE_2)
	s_fmamk_f32 s2, s23, 0x4f800000, s2
	s_wait_alu 0xfffe
	v_s_rcp_f32 s2, s2
	s_delay_alu instid0(TRANS32_DEP_1) | instskip(SKIP_1) | instid1(SALU_CYCLE_2)
	s_mul_f32 s2, s2, 0x5f7ffffc
	s_wait_alu 0xfffe
	s_mul_f32 s23, s2, 0x2f800000
	s_wait_alu 0xfffe
	s_delay_alu instid0(SALU_CYCLE_2) | instskip(SKIP_1) | instid1(SALU_CYCLE_2)
	s_trunc_f32 s23, s23
	s_wait_alu 0xfffe
	s_fmamk_f32 s2, s23, 0xcf800000, s2
	s_cvt_u32_f32 s25, s23
	s_wait_alu 0xfffe
	s_delay_alu instid0(SALU_CYCLE_1) | instskip(SKIP_1) | instid1(SALU_CYCLE_2)
	s_cvt_u32_f32 s24, s2
	s_wait_alu 0xfffe
	s_mul_u64 s[28:29], s[26:27], s[24:25]
	s_wait_alu 0xfffe
	s_mul_hi_u32 s31, s24, s29
	s_mul_i32 s30, s24, s29
	s_mul_hi_u32 s2, s24, s28
	s_mul_i32 s33, s25, s28
	s_wait_alu 0xfffe
	s_add_nc_u64 s[30:31], s[2:3], s[30:31]
	s_mul_hi_u32 s23, s25, s28
	s_mul_hi_u32 s34, s25, s29
	s_add_co_u32 s2, s30, s33
	s_wait_alu 0xfffe
	s_add_co_ci_u32 s2, s31, s23
	s_mul_i32 s28, s25, s29
	s_add_co_ci_u32 s29, s34, 0
	s_wait_alu 0xfffe
	s_add_nc_u64 s[28:29], s[2:3], s[28:29]
	s_wait_alu 0xfffe
	v_add_co_u32 v4, s2, s24, s28
	s_delay_alu instid0(VALU_DEP_1) | instskip(SKIP_1) | instid1(VALU_DEP_1)
	s_cmp_lg_u32 s2, 0
	s_add_co_ci_u32 s25, s25, s29
	v_readfirstlane_b32 s24, v4
	s_wait_alu 0xfffe
	s_delay_alu instid0(VALU_DEP_1)
	s_mul_u64 s[26:27], s[26:27], s[24:25]
	s_wait_alu 0xfffe
	s_mul_hi_u32 s29, s24, s27
	s_mul_i32 s28, s24, s27
	s_mul_hi_u32 s2, s24, s26
	s_mul_i32 s30, s25, s26
	s_wait_alu 0xfffe
	s_add_nc_u64 s[28:29], s[2:3], s[28:29]
	s_mul_hi_u32 s23, s25, s26
	s_mul_hi_u32 s24, s25, s27
	s_wait_alu 0xfffe
	s_add_co_u32 s2, s28, s30
	s_add_co_ci_u32 s2, s29, s23
	s_mul_i32 s26, s25, s27
	s_add_co_ci_u32 s27, s24, 0
	s_wait_alu 0xfffe
	s_add_nc_u64 s[26:27], s[2:3], s[26:27]
	s_wait_alu 0xfffe
	v_add_co_u32 v4, s2, v4, s26
	s_delay_alu instid0(VALU_DEP_1) | instskip(SKIP_1) | instid1(VALU_DEP_1)
	s_cmp_lg_u32 s2, 0
	s_add_co_ci_u32 s2, s25, s27
	v_mul_hi_u32 v13, v5, v4
	s_wait_alu 0xfffe
	v_mad_co_u64_u32 v[7:8], null, v5, s2, 0
	v_mad_co_u64_u32 v[9:10], null, v6, v4, 0
	;; [unrolled: 1-line block ×3, first 2 shown]
	s_delay_alu instid0(VALU_DEP_3) | instskip(SKIP_1) | instid1(VALU_DEP_4)
	v_add_co_u32 v4, vcc_lo, v13, v7
	s_wait_alu 0xfffd
	v_add_co_ci_u32_e32 v7, vcc_lo, 0, v8, vcc_lo
	s_delay_alu instid0(VALU_DEP_2) | instskip(SKIP_1) | instid1(VALU_DEP_2)
	v_add_co_u32 v4, vcc_lo, v4, v9
	s_wait_alu 0xfffd
	v_add_co_ci_u32_e32 v4, vcc_lo, v7, v10, vcc_lo
	s_wait_alu 0xfffd
	v_add_co_ci_u32_e32 v7, vcc_lo, 0, v12, vcc_lo
	s_delay_alu instid0(VALU_DEP_2) | instskip(SKIP_1) | instid1(VALU_DEP_2)
	v_add_co_u32 v4, vcc_lo, v4, v11
	s_wait_alu 0xfffd
	v_add_co_ci_u32_e32 v9, vcc_lo, 0, v7, vcc_lo
	s_delay_alu instid0(VALU_DEP_2) | instskip(SKIP_1) | instid1(VALU_DEP_3)
	v_mul_lo_u32 v10, s21, v4
	v_mad_co_u64_u32 v[7:8], null, s20, v4, 0
	v_mul_lo_u32 v11, s20, v9
	s_delay_alu instid0(VALU_DEP_2) | instskip(NEXT) | instid1(VALU_DEP_2)
	v_sub_co_u32 v7, vcc_lo, v5, v7
	v_add3_u32 v8, v8, v11, v10
	s_delay_alu instid0(VALU_DEP_1) | instskip(SKIP_1) | instid1(VALU_DEP_1)
	v_sub_nc_u32_e32 v10, v6, v8
	s_wait_alu 0xfffd
	v_subrev_co_ci_u32_e64 v10, s2, s21, v10, vcc_lo
	v_add_co_u32 v11, s2, v4, 2
	s_wait_alu 0xf1ff
	v_add_co_ci_u32_e64 v12, s2, 0, v9, s2
	v_sub_co_u32 v13, s2, v7, s20
	v_sub_co_ci_u32_e32 v8, vcc_lo, v6, v8, vcc_lo
	s_wait_alu 0xf1ff
	v_subrev_co_ci_u32_e64 v10, s2, 0, v10, s2
	s_delay_alu instid0(VALU_DEP_3) | instskip(NEXT) | instid1(VALU_DEP_3)
	v_cmp_le_u32_e32 vcc_lo, s20, v13
	v_cmp_eq_u32_e64 s2, s21, v8
	s_wait_alu 0xfffd
	v_cndmask_b32_e64 v13, 0, -1, vcc_lo
	v_cmp_le_u32_e32 vcc_lo, s21, v10
	s_wait_alu 0xfffd
	v_cndmask_b32_e64 v14, 0, -1, vcc_lo
	v_cmp_le_u32_e32 vcc_lo, s20, v7
	;; [unrolled: 3-line block ×3, first 2 shown]
	s_wait_alu 0xfffd
	v_cndmask_b32_e64 v15, 0, -1, vcc_lo
	v_cmp_eq_u32_e32 vcc_lo, s21, v10
	s_wait_alu 0xf1ff
	s_delay_alu instid0(VALU_DEP_2)
	v_cndmask_b32_e64 v7, v15, v7, s2
	s_wait_alu 0xfffd
	v_cndmask_b32_e32 v10, v14, v13, vcc_lo
	v_add_co_u32 v13, vcc_lo, v4, 1
	s_wait_alu 0xfffd
	v_add_co_ci_u32_e32 v14, vcc_lo, 0, v9, vcc_lo
	s_delay_alu instid0(VALU_DEP_3) | instskip(SKIP_2) | instid1(VALU_DEP_3)
	v_cmp_ne_u32_e32 vcc_lo, 0, v10
	s_wait_alu 0xfffd
	v_cndmask_b32_e32 v10, v13, v11, vcc_lo
	v_cndmask_b32_e32 v8, v14, v12, vcc_lo
	v_cmp_ne_u32_e32 vcc_lo, 0, v7
	s_wait_alu 0xfffd
	s_delay_alu instid0(VALU_DEP_2)
	v_dual_cndmask_b32 v7, v4, v10 :: v_dual_cndmask_b32 v8, v9, v8
.LBB0_4:                                ;   in Loop: Header=BB0_2 Depth=1
	s_wait_alu 0xfffe
	s_and_not1_saveexec_b32 s2, s22
	s_cbranch_execz .LBB0_6
; %bb.5:                                ;   in Loop: Header=BB0_2 Depth=1
	v_cvt_f32_u32_e32 v4, s20
	s_sub_co_i32 s22, 0, s20
	s_delay_alu instid0(VALU_DEP_1) | instskip(NEXT) | instid1(TRANS32_DEP_1)
	v_rcp_iflag_f32_e32 v4, v4
	v_mul_f32_e32 v4, 0x4f7ffffe, v4
	s_delay_alu instid0(VALU_DEP_1) | instskip(SKIP_1) | instid1(VALU_DEP_1)
	v_cvt_u32_f32_e32 v4, v4
	s_wait_alu 0xfffe
	v_mul_lo_u32 v7, s22, v4
	s_delay_alu instid0(VALU_DEP_1) | instskip(NEXT) | instid1(VALU_DEP_1)
	v_mul_hi_u32 v7, v4, v7
	v_add_nc_u32_e32 v4, v4, v7
	s_delay_alu instid0(VALU_DEP_1) | instskip(NEXT) | instid1(VALU_DEP_1)
	v_mul_hi_u32 v4, v5, v4
	v_mul_lo_u32 v7, v4, s20
	v_add_nc_u32_e32 v8, 1, v4
	s_delay_alu instid0(VALU_DEP_2) | instskip(NEXT) | instid1(VALU_DEP_1)
	v_sub_nc_u32_e32 v7, v5, v7
	v_subrev_nc_u32_e32 v9, s20, v7
	v_cmp_le_u32_e32 vcc_lo, s20, v7
	s_wait_alu 0xfffd
	s_delay_alu instid0(VALU_DEP_2) | instskip(NEXT) | instid1(VALU_DEP_1)
	v_dual_cndmask_b32 v7, v7, v9 :: v_dual_cndmask_b32 v4, v4, v8
	v_cmp_le_u32_e32 vcc_lo, s20, v7
	s_delay_alu instid0(VALU_DEP_2) | instskip(SKIP_1) | instid1(VALU_DEP_1)
	v_add_nc_u32_e32 v8, 1, v4
	s_wait_alu 0xfffd
	v_dual_cndmask_b32 v7, v4, v8 :: v_dual_mov_b32 v8, v3
.LBB0_6:                                ;   in Loop: Header=BB0_2 Depth=1
	s_wait_alu 0xfffe
	s_or_b32 exec_lo, exec_lo, s2
	s_load_b64 s[22:23], s[14:15], 0x0
	s_delay_alu instid0(VALU_DEP_1)
	v_mul_lo_u32 v4, v8, s20
	v_mul_lo_u32 v11, v7, s21
	v_mad_co_u64_u32 v[9:10], null, v7, s20, 0
	s_add_nc_u64 s[16:17], s[16:17], 1
	s_add_nc_u64 s[14:15], s[14:15], 8
	s_wait_alu 0xfffe
	v_cmp_ge_u64_e64 s2, s[16:17], s[6:7]
	s_add_nc_u64 s[18:19], s[18:19], 8
	s_delay_alu instid0(VALU_DEP_2) | instskip(NEXT) | instid1(VALU_DEP_3)
	v_add3_u32 v4, v10, v11, v4
	v_sub_co_u32 v5, vcc_lo, v5, v9
	s_wait_alu 0xfffd
	s_delay_alu instid0(VALU_DEP_2) | instskip(SKIP_3) | instid1(VALU_DEP_2)
	v_sub_co_ci_u32_e32 v4, vcc_lo, v6, v4, vcc_lo
	s_and_b32 vcc_lo, exec_lo, s2
	s_wait_kmcnt 0x0
	v_mul_lo_u32 v6, s23, v5
	v_mul_lo_u32 v4, s22, v4
	v_mad_co_u64_u32 v[1:2], null, s22, v5, v[1:2]
	s_delay_alu instid0(VALU_DEP_1)
	v_add3_u32 v2, v6, v2, v4
	s_wait_alu 0xfffe
	s_cbranch_vccnz .LBB0_9
; %bb.7:                                ;   in Loop: Header=BB0_2 Depth=1
	v_dual_mov_b32 v5, v7 :: v_dual_mov_b32 v6, v8
	s_branch .LBB0_2
.LBB0_8:
	v_dual_mov_b32 v8, v6 :: v_dual_mov_b32 v7, v5
.LBB0_9:
	s_lshl_b64 s[2:3], s[6:7], 3
	v_mul_hi_u32 v3, 0x5050506, v0
	s_wait_alu 0xfffe
	s_add_nc_u64 s[2:3], s[12:13], s[2:3]
	v_dual_mov_b32 v13, 0 :: v_dual_mov_b32 v12, 0
	s_load_b64 s[2:3], s[2:3], 0x0
	s_load_b64 s[0:1], s[0:1], 0x20
                                        ; implicit-def: $vgpr57
                                        ; implicit-def: $vgpr63
                                        ; implicit-def: $vgpr61
                                        ; implicit-def: $vgpr53
                                        ; implicit-def: $vgpr51
                                        ; implicit-def: $vgpr43
                                        ; implicit-def: $vgpr37
                                        ; implicit-def: $vgpr23
                                        ; implicit-def: $vgpr25
                                        ; implicit-def: $vgpr49
                                        ; implicit-def: $vgpr55
                                        ; implicit-def: $vgpr59
                                        ; implicit-def: $vgpr65
                                        ; implicit-def: $vgpr69
                                        ; implicit-def: $vgpr67
                                        ; implicit-def: $vgpr35
                                        ; implicit-def: $vgpr27
                                        ; implicit-def: $vgpr19
                                        ; implicit-def: $vgpr17
                                        ; implicit-def: $vgpr11
                                        ; implicit-def: $vgpr9
                                        ; implicit-def: $vgpr45
                                        ; implicit-def: $vgpr47
                                        ; implicit-def: $vgpr39
                                        ; implicit-def: $vgpr31
                                        ; implicit-def: $vgpr21
                                        ; implicit-def: $vgpr15
                                        ; implicit-def: $vgpr41
                                        ; implicit-def: $vgpr33
	s_delay_alu instid0(VALU_DEP_2) | instskip(NEXT) | instid1(VALU_DEP_1)
	v_mul_u32_u24_e32 v3, 51, v3
	v_sub_nc_u32_e32 v70, v0, v3
                                        ; implicit-def: $vgpr3
	s_wait_kmcnt 0x0
	v_mul_lo_u32 v4, s2, v8
	v_mul_lo_u32 v5, s3, v7
	v_mad_co_u64_u32 v[1:2], null, s2, v7, v[1:2]
	v_cmp_gt_u64_e32 vcc_lo, s[0:1], v[7:8]
                                        ; implicit-def: $vgpr7
	s_delay_alu instid0(VALU_DEP_2) | instskip(NEXT) | instid1(VALU_DEP_1)
	v_add3_u32 v2, v5, v2, v4
                                        ; implicit-def: $vgpr5
	v_lshlrev_b64_e32 v[28:29], 3, v[1:2]
                                        ; implicit-def: $vgpr1
	s_and_saveexec_b32 s1, vcc_lo
	s_cbranch_execz .LBB0_13
; %bb.10:
	v_add_nc_u32_e32 v8, 0x63, v70
	v_add_nc_u32_e32 v9, 0xc6, v70
	v_mad_co_u64_u32 v[0:1], null, s8, v70, 0
	v_add_nc_u32_e32 v15, 0x1ef, v70
	s_delay_alu instid0(VALU_DEP_4) | instskip(NEXT) | instid1(VALU_DEP_4)
	v_mad_co_u64_u32 v[2:3], null, s8, v8, 0
	v_mad_co_u64_u32 v[4:5], null, s8, v9, 0
	v_add_co_u32 v21, s0, s10, v28
	s_delay_alu instid0(VALU_DEP_4) | instskip(NEXT) | instid1(VALU_DEP_4)
	v_mad_co_u64_u32 v[12:13], null, s8, v15, 0
	v_mad_co_u64_u32 v[6:7], null, s9, v70, v[1:2]
	v_mov_b32_e32 v1, v3
	v_dual_mov_b32 v3, v5 :: v_dual_add_nc_u32 v10, 0x129, v70
	s_wait_alu 0xf1ff
	v_add_co_ci_u32_e64 v31, s0, s11, v29, s0
	s_delay_alu instid0(VALU_DEP_3) | instskip(SKIP_3) | instid1(VALU_DEP_4)
	v_mad_co_u64_u32 v[7:8], null, s9, v8, v[1:2]
	v_mov_b32_e32 v1, v6
	v_mad_co_u64_u32 v[5:6], null, s9, v9, v[3:4]
	v_mad_co_u64_u32 v[8:9], null, s8, v10, 0
	v_dual_mov_b32 v3, v7 :: v_dual_add_nc_u32 v14, 0x18c, v70
	s_mov_b32 s2, exec_lo
                                        ; implicit-def: $vgpr38
                                        ; implicit-def: $vgpr46
                                        ; implicit-def: $vgpr44
                                        ; implicit-def: $vgpr34
	v_add_nc_u32_e32 v18, 0x2b5, v70
	s_delay_alu instid0(VALU_DEP_4)
	v_lshlrev_b64_e32 v[4:5], 3, v[4:5]
	v_add_nc_u32_e32 v30, 0x5cd, v70
	v_mov_b32_e32 v6, v9
	v_lshlrev_b64_e32 v[0:1], 3, v[0:1]
	v_lshlrev_b64_e32 v[2:3], 3, v[2:3]
	v_mad_co_u64_u32 v[16:17], null, s8, v18, 0
	s_delay_alu instid0(VALU_DEP_4) | instskip(SKIP_4) | instid1(VALU_DEP_4)
	v_mad_co_u64_u32 v[6:7], null, s9, v10, v[6:7]
	v_mad_co_u64_u32 v[10:11], null, s8, v14, 0
	v_add_co_u32 v0, s0, v21, v0
	s_wait_alu 0xf1ff
	v_add_co_ci_u32_e64 v1, s0, v31, v1, s0
	v_mov_b32_e32 v9, v6
	v_add_co_u32 v2, s0, v21, v2
	v_dual_mov_b32 v6, v11 :: v_dual_mov_b32 v7, v13
	s_delay_alu instid0(VALU_DEP_3)
	v_lshlrev_b64_e32 v[8:9], 3, v[8:9]
	s_wait_alu 0xf1ff
	v_add_co_ci_u32_e64 v3, s0, v31, v3, s0
	v_add_co_u32 v4, s0, v21, v4
	s_wait_alu 0xf1ff
	v_add_co_ci_u32_e64 v5, s0, v31, v5, s0
	v_mad_co_u64_u32 v[13:14], null, s9, v14, v[6:7]
	v_mad_co_u64_u32 v[6:7], null, s9, v15, v[7:8]
	v_add_co_u32 v7, s0, v21, v8
	s_wait_alu 0xf1ff
	v_add_co_ci_u32_e64 v8, s0, v31, v9, s0
	v_add_nc_u32_e32 v9, 0x252, v70
	v_mov_b32_e32 v11, v13
	v_mov_b32_e32 v13, v6
	s_clause 0x3
	global_load_b64 v[56:57], v[0:1], off
	global_load_b64 v[62:63], v[2:3], off
	;; [unrolled: 1-line block ×4, first 2 shown]
	v_mov_b32_e32 v5, v17
	v_mad_co_u64_u32 v[14:15], null, s8, v9, 0
	v_lshlrev_b64_e32 v[3:4], 3, v[12:13]
	s_delay_alu instid0(VALU_DEP_2) | instskip(NEXT) | instid1(VALU_DEP_1)
	v_mov_b32_e32 v2, v15
	v_mad_co_u64_u32 v[6:7], null, s9, v9, v[2:3]
	s_delay_alu instid0(VALU_DEP_1)
	v_mad_co_u64_u32 v[7:8], null, s9, v18, v[5:6]
	v_add_nc_u32_e32 v18, 0x37b, v70
	v_lshlrev_b64_e32 v[0:1], 3, v[10:11]
	v_add_nc_u32_e32 v11, 0x318, v70
	v_mov_b32_e32 v15, v6
	v_mov_b32_e32 v17, v7
	s_delay_alu instid0(VALU_DEP_3)
	v_mad_co_u64_u32 v[8:9], null, s8, v11, 0
	v_add_co_u32 v0, s0, v21, v0
	s_wait_alu 0xf1ff
	v_add_co_ci_u32_e64 v1, s0, v31, v1, s0
	v_add_co_u32 v2, s0, v21, v3
	v_lshlrev_b64_e32 v[5:6], 3, v[14:15]
	s_wait_alu 0xf1ff
	v_add_co_ci_u32_e64 v3, s0, v31, v4, s0
	v_mov_b32_e32 v4, v9
	v_lshlrev_b64_e32 v[9:10], 3, v[16:17]
	v_add_nc_u32_e32 v16, 0x3de, v70
	s_delay_alu instid0(VALU_DEP_3)
	v_mad_co_u64_u32 v[11:12], null, s9, v11, v[4:5]
	v_mad_co_u64_u32 v[12:13], null, s8, v18, 0
	v_add_co_u32 v4, s0, v21, v5
	s_wait_alu 0xf1ff
	v_add_co_ci_u32_e64 v5, s0, v31, v6, s0
	v_add_co_u32 v6, s0, v21, v9
	s_wait_alu 0xf1ff
	v_add_co_ci_u32_e64 v7, s0, v31, v10, s0
	v_dual_mov_b32 v10, v13 :: v_dual_mov_b32 v9, v11
	v_mad_co_u64_u32 v[14:15], null, s8, v16, 0
	s_clause 0x3
	global_load_b64 v[50:51], v[0:1], off
	global_load_b64 v[42:43], v[2:3], off
	;; [unrolled: 1-line block ×4, first 2 shown]
	v_mad_co_u64_u32 v[10:11], null, s9, v18, v[10:11]
	v_add_nc_u32_e32 v11, 0x441, v70
	v_lshlrev_b64_e32 v[0:1], 3, v[8:9]
	v_mad_co_u64_u32 v[17:18], null, s8, v30, 0
	v_mov_b32_e32 v2, v15
	s_delay_alu instid0(VALU_DEP_4) | instskip(SKIP_4) | instid1(VALU_DEP_4)
	v_mad_co_u64_u32 v[3:4], null, s8, v11, 0
	v_mov_b32_e32 v13, v10
	v_add_co_u32 v0, s0, v21, v0
	s_wait_alu 0xf1ff
	v_add_co_ci_u32_e64 v1, s0, v31, v1, s0
	v_mad_co_u64_u32 v[5:6], null, s9, v16, v[2:3]
	v_mov_b32_e32 v2, v4
	v_lshlrev_b64_e32 v[6:7], 3, v[12:13]
	s_delay_alu instid0(VALU_DEP_3) | instskip(NEXT) | instid1(VALU_DEP_3)
	v_dual_mov_b32 v15, v5 :: v_dual_add_nc_u32 v16, 0x4a4, v70
	v_mad_co_u64_u32 v[4:5], null, s9, v11, v[2:3]
	s_delay_alu instid0(VALU_DEP_2) | instskip(NEXT) | instid1(VALU_DEP_4)
	v_mad_co_u64_u32 v[8:9], null, s8, v16, 0
	v_add_co_u32 v5, s0, v21, v6
	s_wait_alu 0xf1ff
	v_add_co_ci_u32_e64 v6, s0, v31, v7, s0
	v_add_nc_u32_e32 v7, 0x507, v70
	v_lshlrev_b64_e32 v[10:11], 3, v[14:15]
	v_lshlrev_b64_e32 v[3:4], 3, v[3:4]
	v_mov_b32_e32 v2, v9
	s_delay_alu instid0(VALU_DEP_4) | instskip(NEXT) | instid1(VALU_DEP_4)
	v_mad_co_u64_u32 v[12:13], null, s8, v7, 0
	v_add_co_u32 v10, s0, v21, v10
	s_delay_alu instid0(VALU_DEP_3) | instskip(SKIP_2) | instid1(VALU_DEP_4)
	v_mad_co_u64_u32 v[14:15], null, s9, v16, v[2:3]
	s_wait_alu 0xf1ff
	v_add_co_ci_u32_e64 v11, s0, v31, v11, s0
	v_mov_b32_e32 v2, v13
	v_add_co_u32 v3, s0, v21, v3
	s_wait_alu 0xf1ff
	v_add_co_ci_u32_e64 v4, s0, v31, v4, s0
	v_mov_b32_e32 v9, v14
	s_delay_alu instid0(VALU_DEP_3)
	v_mad_co_u64_u32 v[13:14], null, s9, v7, v[2:3]
	v_add_nc_u32_e32 v7, 0x630, v70
	s_clause 0x3
	global_load_b64 v[24:25], v[0:1], off
	global_load_b64 v[32:33], v[5:6], off
	;; [unrolled: 1-line block ×4, first 2 shown]
	v_mov_b32_e32 v0, v18
                                        ; implicit-def: $vgpr14
	v_mad_co_u64_u32 v[26:27], null, s8, v7, 0
	v_add_nc_u32_e32 v19, 0x56a, v70
	s_delay_alu instid0(VALU_DEP_1) | instskip(NEXT) | instid1(VALU_DEP_1)
	v_mad_co_u64_u32 v[15:16], null, s8, v19, 0
	v_mov_b32_e32 v2, v16
	s_delay_alu instid0(VALU_DEP_1) | instskip(SKIP_1) | instid1(VALU_DEP_1)
	v_mad_co_u64_u32 v[19:20], null, s9, v19, v[2:3]
	v_lshlrev_b64_e32 v[1:2], 3, v[8:9]
                                        ; implicit-def: $vgpr20
	v_mad_co_u64_u32 v[3:4], null, s9, v30, v[0:1]
	v_mov_b32_e32 v0, v27
	v_add_co_u32 v1, s0, v21, v1
	v_mov_b32_e32 v16, v19
	v_lshlrev_b64_e32 v[4:5], 3, v[12:13]
	v_mov_b32_e32 v12, 0
	s_delay_alu instid0(VALU_DEP_4) | instskip(NEXT) | instid1(VALU_DEP_4)
	v_mad_co_u64_u32 v[6:7], null, s9, v7, v[0:1]
	v_lshlrev_b64_e32 v[7:8], 3, v[15:16]
	v_mov_b32_e32 v18, v3
	s_wait_alu 0xf1ff
	v_add_co_ci_u32_e64 v2, s0, v31, v2, s0
	v_add_co_u32 v3, s0, v21, v4
	v_mov_b32_e32 v27, v6
	s_wait_alu 0xf1ff
	v_add_co_ci_u32_e64 v4, s0, v31, v5, s0
	v_lshlrev_b64_e32 v[9:10], 3, v[17:18]
	v_add_co_u32 v5, s0, v21, v7
	s_wait_alu 0xf1ff
	v_add_co_ci_u32_e64 v6, s0, v31, v8, s0
	v_lshlrev_b64_e32 v[7:8], 3, v[26:27]
	s_delay_alu instid0(VALU_DEP_4) | instskip(SKIP_3) | instid1(VALU_DEP_4)
	v_add_co_u32 v9, s0, v21, v9
	s_wait_alu 0xf1ff
	v_add_co_ci_u32_e64 v10, s0, v31, v10, s0
	v_mov_b32_e32 v13, 0
	v_add_co_u32 v7, s0, v21, v7
	s_wait_alu 0xf1ff
	v_add_co_ci_u32_e64 v8, s0, v31, v8, s0
	s_clause 0x4
	global_load_b64 v[54:55], v[1:2], off
	global_load_b64 v[58:59], v[3:4], off
	;; [unrolled: 1-line block ×5, first 2 shown]
                                        ; implicit-def: $vgpr30
                                        ; implicit-def: $vgpr8
                                        ; implicit-def: $vgpr4
                                        ; implicit-def: $vgpr2
                                        ; implicit-def: $vgpr0
                                        ; implicit-def: $vgpr6
                                        ; implicit-def: $vgpr10
                                        ; implicit-def: $vgpr16
                                        ; implicit-def: $vgpr18
                                        ; implicit-def: $vgpr26
	v_cmpx_gt_u32_e32 48, v70
	s_cbranch_execz .LBB0_12
; %bb.11:
	v_add_nc_u32_e32 v13, 0x1bf, v70
	v_add_nc_u32_e32 v9, 0x96, v70
	v_or_b32_e32 v81, 0x600, v70
	v_add_nc_u32_e32 v20, 0x411, v70
	v_add_nc_u32_e32 v30, 0x474, v70
	v_mad_co_u64_u32 v[14:15], null, s8, v13, 0
	v_add_nc_u32_e32 v11, 0xf9, v70
	v_mad_co_u64_u32 v[2:3], null, s8, v9, 0
	s_delay_alu instid0(VALU_DEP_2) | instskip(NEXT) | instid1(VALU_DEP_1)
	v_mad_co_u64_u32 v[4:5], null, s8, v11, 0
	v_mad_co_u64_u32 v[9:10], null, s9, v9, v[3:4]
	s_delay_alu instid0(VALU_DEP_1) | instskip(NEXT) | instid1(VALU_DEP_1)
	v_dual_mov_b32 v3, v9 :: v_dual_add_nc_u32 v6, 51, v70
	v_mad_co_u64_u32 v[0:1], null, s8, v6, 0
	s_delay_alu instid0(VALU_DEP_1) | instskip(SKIP_1) | instid1(VALU_DEP_4)
	v_mad_co_u64_u32 v[6:7], null, s9, v6, v[1:2]
	v_add_nc_u32_e32 v12, 0x15c, v70
	v_lshlrev_b64_e32 v[2:3], 3, v[2:3]
	s_delay_alu instid0(VALU_DEP_3) | instskip(NEXT) | instid1(VALU_DEP_3)
	v_mov_b32_e32 v1, v6
	v_mad_co_u64_u32 v[7:8], null, s8, v12, 0
	v_mad_co_u64_u32 v[10:11], null, s9, v11, v[5:6]
	s_delay_alu instid0(VALU_DEP_3) | instskip(SKIP_1) | instid1(VALU_DEP_3)
	v_lshlrev_b64_e32 v[0:1], 3, v[0:1]
	v_add_nc_u32_e32 v16, 0x222, v70
	v_dual_mov_b32 v6, v8 :: v_dual_mov_b32 v5, v10
	s_delay_alu instid0(VALU_DEP_3) | instskip(NEXT) | instid1(VALU_DEP_2)
	v_add_co_u32 v0, s0, v21, v0
	v_mad_co_u64_u32 v[8:9], null, s9, v12, v[6:7]
	v_mov_b32_e32 v6, v15
	s_delay_alu instid0(VALU_DEP_4)
	v_lshlrev_b64_e32 v[4:5], 3, v[4:5]
	s_wait_alu 0xf1ff
	v_add_co_ci_u32_e64 v1, s0, v31, v1, s0
	v_mad_co_u64_u32 v[9:10], null, s8, v16, 0
	v_lshlrev_b64_e32 v[7:8], 3, v[7:8]
	v_add_co_u32 v2, s0, v21, v2
	s_wait_alu 0xf1ff
	v_add_co_ci_u32_e64 v3, s0, v31, v3, s0
	v_add_co_u32 v4, s0, v21, v4
	s_delay_alu instid0(VALU_DEP_4)
	v_mad_co_u64_u32 v[11:12], null, s9, v13, v[6:7]
	s_wait_alu 0xf1ff
	v_add_co_ci_u32_e64 v5, s0, v31, v5, s0
	v_add_co_u32 v6, s0, v21, v7
	s_wait_alu 0xf1ff
	v_add_co_ci_u32_e64 v7, s0, v31, v8, s0
	s_delay_alu instid0(VALU_DEP_4) | instskip(SKIP_1) | instid1(VALU_DEP_1)
	v_mad_co_u64_u32 v[12:13], null, s9, v16, v[10:11]
	v_dual_mov_b32 v15, v11 :: v_dual_add_nc_u32 v8, 0x285, v70
	v_mad_co_u64_u32 v[16:17], null, s8, v8, 0
	s_delay_alu instid0(VALU_DEP_3)
	v_dual_mov_b32 v10, v12 :: v_dual_add_nc_u32 v11, 0x2e8, v70
	s_clause 0x3
	global_load_b64 v[12:13], v[0:1], off
	global_load_b64 v[34:35], v[2:3], off
	;; [unrolled: 1-line block ×4, first 2 shown]
	v_lshlrev_b64_e32 v[0:1], 3, v[14:15]
	v_add_nc_u32_e32 v14, 0x34b, v70
	v_lshlrev_b64_e32 v[3:4], 3, v[9:10]
	v_mov_b32_e32 v2, v17
	v_mad_co_u64_u32 v[38:39], null, s8, v11, 0
	v_add_co_u32 v0, s0, v21, v0
	s_delay_alu instid0(VALU_DEP_3) | instskip(SKIP_2) | instid1(VALU_DEP_4)
	v_mad_co_u64_u32 v[6:7], null, s9, v8, v[2:3]
	s_wait_alu 0xf1ff
	v_add_co_ci_u32_e64 v1, s0, v31, v1, s0
	v_mov_b32_e32 v5, v39
	v_add_co_u32 v2, s0, v21, v3
	s_wait_alu 0xf1ff
	v_add_co_ci_u32_e64 v3, s0, v31, v4, s0
	s_delay_alu instid0(VALU_DEP_3) | instskip(SKIP_2) | instid1(VALU_DEP_3)
	v_mad_co_u64_u32 v[7:8], null, s9, v11, v[5:6]
	v_mad_co_u64_u32 v[8:9], null, s8, v14, 0
	v_mov_b32_e32 v17, v6
	v_mov_b32_e32 v39, v7
	s_delay_alu instid0(VALU_DEP_3) | instskip(NEXT) | instid1(VALU_DEP_3)
	v_dual_mov_b32 v4, v9 :: v_dual_add_nc_u32 v7, 0x3ae, v70
	v_lshlrev_b64_e32 v[5:6], 3, v[16:17]
	s_delay_alu instid0(VALU_DEP_3) | instskip(NEXT) | instid1(VALU_DEP_3)
	v_lshlrev_b64_e32 v[9:10], 3, v[38:39]
	v_mad_co_u64_u32 v[38:39], null, s8, v7, 0
	s_delay_alu instid0(VALU_DEP_3) | instskip(SKIP_3) | instid1(VALU_DEP_4)
	v_mad_co_u64_u32 v[14:15], null, s9, v14, v[4:5]
	v_add_co_u32 v4, s0, v21, v5
	s_wait_alu 0xf1ff
	v_add_co_ci_u32_e64 v5, s0, v31, v6, s0
	v_mov_b32_e32 v6, v39
	v_add_co_u32 v44, s0, v21, v9
	s_wait_alu 0xf1ff
	v_add_co_ci_u32_e64 v45, s0, v31, v10, s0
	s_delay_alu instid0(VALU_DEP_3)
	v_mad_co_u64_u32 v[46:47], null, s9, v7, v[6:7]
	s_clause 0x3
	global_load_b64 v[16:17], v[0:1], off
	global_load_b64 v[10:11], v[2:3], off
	;; [unrolled: 1-line block ×4, first 2 shown]
	v_mov_b32_e32 v9, v14
	v_mad_co_u64_u32 v[14:15], null, s8, v20, 0
	s_delay_alu instid0(VALU_DEP_2) | instskip(SKIP_1) | instid1(VALU_DEP_3)
	v_lshlrev_b64_e32 v[2:3], 3, v[8:9]
	v_mad_co_u64_u32 v[8:9], null, s8, v30, 0
	v_dual_mov_b32 v39, v46 :: v_dual_mov_b32 v4, v15
	s_delay_alu instid0(VALU_DEP_3) | instskip(NEXT) | instid1(VALU_DEP_2)
	v_add_co_u32 v2, s0, v21, v2
	v_lshlrev_b64_e32 v[38:39], 3, v[38:39]
	s_delay_alu instid0(VALU_DEP_3) | instskip(SKIP_3) | instid1(VALU_DEP_4)
	v_mad_co_u64_u32 v[4:5], null, s9, v20, v[4:5]
	v_dual_mov_b32 v5, v9 :: v_dual_add_nc_u32 v20, 0x4d7, v70
	s_wait_alu 0xf1ff
	v_add_co_ci_u32_e64 v3, s0, v31, v3, s0
	v_add_co_u32 v38, s0, v21, v38
	s_delay_alu instid0(VALU_DEP_4)
	v_mov_b32_e32 v15, v4
	v_mad_co_u64_u32 v[44:45], null, s8, v20, 0
	s_wait_alu 0xf1ff
	v_add_co_ci_u32_e64 v39, s0, v31, v39, s0
	s_wait_loadcnt 0x1
	v_mad_co_u64_u32 v[4:5], null, s9, v30, v[5:6]
	v_add_nc_u32_e32 v30, 0x53a, v70
	v_lshlrev_b64_e32 v[14:15], 3, v[14:15]
	s_delay_alu instid0(VALU_DEP_2) | instskip(NEXT) | instid1(VALU_DEP_4)
	v_mad_co_u64_u32 v[46:47], null, s8, v30, 0
	v_dual_mov_b32 v9, v4 :: v_dual_mov_b32 v4, v45
	v_add_nc_u32_e32 v78, 0x59d, v70
	s_delay_alu instid0(VALU_DEP_4) | instskip(NEXT) | instid1(VALU_DEP_3)
	v_add_co_u32 v14, s0, v21, v14
	v_lshlrev_b64_e32 v[8:9], 3, v[8:9]
	s_delay_alu instid0(VALU_DEP_4) | instskip(SKIP_4) | instid1(VALU_DEP_3)
	v_mad_co_u64_u32 v[4:5], null, s9, v20, v[4:5]
	v_mov_b32_e32 v5, v47
	v_mad_co_u64_u32 v[71:72], null, s8, v78, 0
	s_wait_alu 0xf1ff
	v_add_co_ci_u32_e64 v15, s0, v31, v15, s0
	v_mad_co_u64_u32 v[75:76], null, s9, v30, v[5:6]
	v_dual_mov_b32 v45, v4 :: v_dual_add_nc_u32 v30, 0x663, v70
	s_delay_alu instid0(VALU_DEP_4) | instskip(SKIP_3) | instid1(VALU_DEP_4)
	v_mov_b32_e32 v4, v72
	v_mad_co_u64_u32 v[76:77], null, s8, v81, 0
	v_add_co_u32 v73, s0, v21, v8
	v_mov_b32_e32 v47, v75
	v_mad_co_u64_u32 v[78:79], null, s9, v78, v[4:5]
	v_mad_co_u64_u32 v[79:80], null, s8, v30, 0
	v_mov_b32_e32 v20, v77
	s_wait_alu 0xf1ff
	v_add_co_ci_u32_e64 v74, s0, v31, v9, s0
	s_clause 0x3
	global_load_b64 v[2:3], v[2:3], off
	global_load_b64 v[4:5], v[38:39], off
	global_load_b64 v[8:9], v[14:15], off
	global_load_b64 v[14:15], v[73:74], off
	v_lshlrev_b64_e32 v[38:39], 3, v[44:45]
	v_mad_co_u64_u32 v[44:45], null, s9, v81, v[20:21]
	v_mov_b32_e32 v20, v80
	v_mov_b32_e32 v72, v78
	v_lshlrev_b64_e32 v[45:46], 3, v[46:47]
	v_add_co_u32 v38, s0, v21, v38
	s_delay_alu instid0(VALU_DEP_4)
	v_mad_co_u64_u32 v[73:74], null, s9, v30, v[20:21]
	v_mov_b32_e32 v77, v44
	s_wait_alu 0xf1ff
	v_add_co_ci_u32_e64 v39, s0, v31, v39, s0
	v_lshlrev_b64_e32 v[71:72], 3, v[71:72]
	v_add_co_u32 v44, s0, v21, v45
	v_mov_b32_e32 v80, v73
	s_wait_alu 0xf1ff
	v_add_co_ci_u32_e64 v45, s0, v31, v46, s0
	v_lshlrev_b64_e32 v[46:47], 3, v[76:77]
	v_add_co_u32 v71, s0, v21, v71
	v_lshlrev_b64_e32 v[73:74], 3, v[79:80]
	s_wait_alu 0xf1ff
	v_add_co_ci_u32_e64 v72, s0, v31, v72, s0
	s_delay_alu instid0(VALU_DEP_4)
	v_add_co_u32 v46, s0, v21, v46
	s_wait_alu 0xf1ff
	v_add_co_ci_u32_e64 v47, s0, v31, v47, s0
	v_add_co_u32 v73, s0, v21, v73
	s_wait_alu 0xf1ff
	v_add_co_ci_u32_e64 v74, s0, v31, v74, s0
	s_clause 0x4
	global_load_b64 v[20:21], v[38:39], off
	global_load_b64 v[30:31], v[44:45], off
	;; [unrolled: 1-line block ×5, first 2 shown]
.LBB0_12:
	s_wait_alu 0xfffe
	s_or_b32 exec_lo, exec_lo, s2
.LBB0_13:
	s_wait_alu 0xfffe
	s_or_b32 exec_lo, exec_lo, s1
	s_wait_loadcnt 0x0
	v_dual_add_f32 v71, v56, v62 :: v_dual_sub_f32 v72, v63, v67
	v_sub_f32_e32 v75, v61, v69
	v_dual_add_f32 v73, v62, v66 :: v_dual_add_f32 v74, v60, v68
	v_cmp_gt_u32_e64 s0, 48, v70
	s_delay_alu instid0(VALU_DEP_4) | instskip(NEXT) | instid1(VALU_DEP_4)
	v_mul_f32_e32 v76, 0xbeb8f4ab, v72
	v_dual_add_f32 v71, v71, v60 :: v_dual_mul_f32 v84, 0xbf7ee86f, v75
	s_delay_alu instid0(VALU_DEP_1) | instskip(NEXT) | instid1(VALU_DEP_1)
	v_dual_mul_f32 v86, 0xbe3c28d5, v75 :: v_dual_add_f32 v71, v71, v52
	v_dual_mul_f32 v78, 0xbf65296c, v72 :: v_dual_add_f32 v71, v71, v50
	s_delay_alu instid0(VALU_DEP_1) | instskip(SKIP_2) | instid1(VALU_DEP_4)
	v_fmamk_f32 v89, v73, 0x3ee437d1, v78
	v_fma_f32 v78, 0x3ee437d1, v73, -v78
	v_fmamk_f32 v87, v73, 0x3f6eb680, v76
	v_dual_mul_f32 v80, 0xbf763a35, v72 :: v_dual_add_f32 v71, v71, v42
	v_fma_f32 v76, 0x3f6eb680, v73, -v76
	s_delay_alu instid0(VALU_DEP_4) | instskip(NEXT) | instid1(VALU_DEP_4)
	v_add_f32_e32 v78, v78, v56
	v_add_f32_e32 v87, v87, v56
	v_mul_f32_e32 v77, 0xbf2c7751, v72
	v_add_f32_e32 v71, v71, v36
	v_mul_f32_e32 v82, 0xbf06c442, v72
	v_fmamk_f32 v91, v73, 0xbe8c1d8e, v80
	v_fma_f32 v80, 0xbe8c1d8e, v73, -v80
	v_fmamk_f32 v88, v73, 0x3f3d2fb0, v77
	v_mul_f32_e32 v85, 0xbf4c4adb, v75
	v_fma_f32 v77, 0x3f3d2fb0, v73, -v77
	s_delay_alu instid0(VALU_DEP_4) | instskip(NEXT) | instid1(VALU_DEP_4)
	v_dual_add_f32 v71, v71, v22 :: v_dual_add_f32 v80, v80, v56
	v_add_f32_e32 v88, v88, v56
	s_delay_alu instid0(VALU_DEP_3) | instskip(SKIP_4) | instid1(VALU_DEP_4)
	v_dual_fmamk_f32 v96, v74, 0xbf1a4643, v85 :: v_dual_add_f32 v77, v77, v56
	v_fma_f32 v85, 0xbf1a4643, v74, -v85
	v_mul_f32_e32 v79, 0xbf7ee86f, v72
	v_add_f32_e32 v71, v71, v24
	v_add_f32_e32 v91, v91, v56
	v_dual_mul_f32 v81, 0xbf4c4adb, v72 :: v_dual_add_f32 v78, v85, v78
	s_delay_alu instid0(VALU_DEP_3) | instskip(SKIP_1) | instid1(VALU_DEP_3)
	v_dual_fmamk_f32 v90, v73, 0x3dbcf732, v79 :: v_dual_add_f32 v71, v71, v32
	v_mul_f32_e32 v72, 0xbe3c28d5, v72
	v_fmamk_f32 v92, v73, 0xbf1a4643, v81
	v_fma_f32 v79, 0x3dbcf732, v73, -v79
	v_dual_mul_f32 v83, 0xbf2c7751, v75 :: v_dual_add_f32 v76, v76, v56
	s_delay_alu instid0(VALU_DEP_4) | instskip(SKIP_3) | instid1(VALU_DEP_4)
	v_dual_add_f32 v71, v40, v71 :: v_dual_fmamk_f32 v94, v73, 0xbf7ba420, v72
	v_fmamk_f32 v95, v74, 0x3dbcf732, v84
	v_fma_f32 v84, 0x3dbcf732, v74, -v84
	v_fmamk_f32 v97, v74, 0xbf7ba420, v86
	v_add_f32_e32 v71, v71, v48
	v_fma_f32 v86, 0xbf7ba420, v74, -v86
	v_mul_f32_e32 v85, 0x3f763a35, v75
	v_add_f32_e32 v79, v79, v56
	v_fma_f32 v81, 0xbf1a4643, v73, -v81
	v_dual_fmamk_f32 v93, v73, 0xbf59a7d5, v82 :: v_dual_add_f32 v92, v92, v56
	v_fma_f32 v82, 0xbf59a7d5, v73, -v82
	v_fma_f32 v72, 0xbf7ba420, v73, -v72
	v_fmamk_f32 v73, v74, 0x3f3d2fb0, v83
	v_fma_f32 v83, 0x3f3d2fb0, v74, -v83
	s_delay_alu instid0(VALU_DEP_4)
	v_dual_add_f32 v71, v71, v54 :: v_dual_add_f32 v82, v82, v56
	v_add_f32_e32 v90, v90, v56
	v_add_f32_e32 v79, v86, v79
	v_dual_fmamk_f32 v86, v74, 0xbe8c1d8e, v85 :: v_dual_add_f32 v77, v84, v77
	v_dual_mul_f32 v84, 0x3f06c442, v75 :: v_dual_add_f32 v89, v89, v56
	v_dual_add_f32 v71, v71, v58 :: v_dual_add_f32 v94, v94, v56
	v_add_f32_e32 v93, v93, v56
	v_add_f32_e32 v81, v81, v56
	;; [unrolled: 1-line block ×3, first 2 shown]
	v_dual_add_f32 v72, v73, v87 :: v_dual_add_f32 v73, v83, v76
	v_add_f32_e32 v76, v95, v88
	v_dual_fmamk_f32 v88, v74, 0xbf59a7d5, v84 :: v_dual_add_f32 v83, v96, v89
	v_fma_f32 v84, 0xbf59a7d5, v74, -v84
	v_mul_f32_e32 v89, 0x3f65296c, v75
	v_fma_f32 v85, 0xbe8c1d8e, v74, -v85
	s_delay_alu instid0(VALU_DEP_3) | instskip(SKIP_1) | instid1(VALU_DEP_4)
	v_add_f32_e32 v80, v84, v80
	v_add_f32_e32 v84, v86, v92
	v_fmamk_f32 v86, v74, 0x3ee437d1, v89
	v_add_f32_e32 v88, v88, v91
	v_mul_f32_e32 v75, 0x3eb8f4ab, v75
	v_fma_f32 v89, 0x3ee437d1, v74, -v89
	v_add_f32_e32 v91, v52, v64
	s_delay_alu instid0(VALU_DEP_3) | instskip(SKIP_4) | instid1(VALU_DEP_1)
	v_dual_add_f32 v87, v97, v90 :: v_dual_fmamk_f32 v90, v74, 0x3f6eb680, v75
	v_add_f32_e32 v86, v86, v93
	v_add_f32_e32 v81, v85, v81
	v_sub_f32_e32 v85, v53, v65
	v_dual_add_f32 v71, v71, v64 :: v_dual_add_f32 v82, v89, v82
	v_dual_mul_f32 v92, 0xbf65296c, v85 :: v_dual_add_f32 v71, v71, v68
	v_mul_f32_e32 v89, 0xbf4c4adb, v85
	s_delay_alu instid0(VALU_DEP_1) | instskip(SKIP_1) | instid1(VALU_DEP_2)
	v_fmamk_f32 v93, v91, 0xbf1a4643, v89
	v_fma_f32 v89, 0xbf1a4643, v91, -v89
	v_add_f32_e32 v76, v93, v76
	s_delay_alu instid0(VALU_DEP_2) | instskip(SKIP_1) | instid1(VALU_DEP_1)
	v_add_f32_e32 v77, v89, v77
	v_mul_f32_e32 v89, 0x3f2c7751, v85
	v_fmamk_f32 v93, v91, 0x3f3d2fb0, v89
	s_delay_alu instid0(VALU_DEP_1) | instskip(SKIP_4) | instid1(VALU_DEP_4)
	v_add_f32_e32 v88, v93, v88
	v_fma_f32 v74, 0x3f6eb680, v74, -v75
	v_add_f32_e32 v71, v71, v66
	v_dual_add_f32 v75, v90, v94 :: v_dual_fmamk_f32 v90, v91, 0x3ee437d1, v92
	v_fma_f32 v92, 0x3ee437d1, v91, -v92
	v_add_f32_e32 v56, v74, v56
	v_mul_f32_e32 v74, 0x3e3c28d5, v85
	s_delay_alu instid0(VALU_DEP_3) | instskip(SKIP_1) | instid1(VALU_DEP_3)
	v_dual_add_f32 v72, v90, v72 :: v_dual_add_f32 v73, v92, v73
	v_mul_f32_e32 v92, 0x3f763a35, v85
	v_fmamk_f32 v90, v91, 0xbf7ba420, v74
	v_fma_f32 v74, 0xbf7ba420, v91, -v74
	s_delay_alu instid0(VALU_DEP_1) | instskip(NEXT) | instid1(VALU_DEP_4)
	v_add_f32_e32 v74, v74, v78
	v_fma_f32 v78, 0xbe8c1d8e, v91, -v92
	s_delay_alu instid0(VALU_DEP_1) | instskip(SKIP_1) | instid1(VALU_DEP_1)
	v_add_f32_e32 v78, v78, v79
	v_dual_add_f32 v83, v90, v83 :: v_dual_fmamk_f32 v90, v91, 0xbe8c1d8e, v92
	v_dual_mul_f32 v92, 0xbeb8f4ab, v85 :: v_dual_add_f32 v87, v90, v87
	s_delay_alu instid0(VALU_DEP_1) | instskip(SKIP_1) | instid1(VALU_DEP_2)
	v_fmamk_f32 v79, v91, 0x3f6eb680, v92
	v_fma_f32 v90, 0x3f6eb680, v91, -v92
	v_dual_add_f32 v79, v79, v84 :: v_dual_mul_f32 v84, 0xbf06c442, v85
	s_delay_alu instid0(VALU_DEP_1) | instskip(SKIP_1) | instid1(VALU_DEP_1)
	v_fmamk_f32 v92, v91, 0xbf59a7d5, v84
	v_fma_f32 v84, 0xbf59a7d5, v91, -v84
	v_add_f32_e32 v56, v84, v56
	v_fma_f32 v89, 0x3f3d2fb0, v91, -v89
	s_delay_alu instid0(VALU_DEP_1) | instskip(SKIP_3) | instid1(VALU_DEP_4)
	v_dual_add_f32 v80, v89, v80 :: v_dual_mul_f32 v89, 0xbf7ee86f, v85
	v_sub_f32_e32 v85, v51, v59
	v_add_f32_e32 v93, v50, v58
	v_add_f32_e32 v81, v90, v81
	v_dual_add_f32 v75, v92, v75 :: v_dual_fmamk_f32 v90, v91, 0x3dbcf732, v89
	v_fma_f32 v89, 0x3dbcf732, v91, -v89
	v_mul_f32_e32 v94, 0xbf7ee86f, v85
	s_delay_alu instid0(VALU_DEP_3) | instskip(NEXT) | instid1(VALU_DEP_3)
	v_add_f32_e32 v86, v90, v86
	v_add_f32_e32 v82, v89, v82
	s_delay_alu instid0(VALU_DEP_3) | instskip(SKIP_1) | instid1(VALU_DEP_2)
	v_fmamk_f32 v89, v93, 0x3dbcf732, v94
	v_mul_f32_e32 v90, 0xbe3c28d5, v85
	v_add_f32_e32 v72, v89, v72
	s_delay_alu instid0(VALU_DEP_2) | instskip(NEXT) | instid1(VALU_DEP_1)
	v_fmamk_f32 v89, v93, 0xbf7ba420, v90
	v_dual_add_f32 v76, v89, v76 :: v_dual_mul_f32 v91, 0x3f763a35, v85
	v_mul_f32_e32 v92, 0x3eb8f4ab, v85
	v_fma_f32 v84, 0x3dbcf732, v93, -v94
	v_fma_f32 v90, 0xbf7ba420, v93, -v90
	s_delay_alu instid0(VALU_DEP_4) | instskip(NEXT) | instid1(VALU_DEP_3)
	v_fma_f32 v89, 0xbe8c1d8e, v93, -v91
	v_add_f32_e32 v73, v84, v73
	s_delay_alu instid0(VALU_DEP_3) | instskip(SKIP_1) | instid1(VALU_DEP_4)
	v_add_f32_e32 v77, v90, v77
	v_mul_f32_e32 v90, 0xbf65296c, v85
	v_add_f32_e32 v74, v89, v74
	v_fmamk_f32 v84, v93, 0xbe8c1d8e, v91
	v_fma_f32 v91, 0x3f6eb680, v93, -v92
	s_delay_alu instid0(VALU_DEP_2) | instskip(NEXT) | instid1(VALU_DEP_2)
	v_dual_add_f32 v83, v84, v83 :: v_dual_fmamk_f32 v84, v93, 0x3f6eb680, v92
	v_add_f32_e32 v78, v91, v78
	s_delay_alu instid0(VALU_DEP_2) | instskip(SKIP_1) | instid1(VALU_DEP_2)
	v_dual_add_f32 v84, v84, v87 :: v_dual_fmamk_f32 v87, v93, 0x3ee437d1, v90
	v_fma_f32 v90, 0x3ee437d1, v93, -v90
	v_dual_mul_f32 v92, 0x3f4c4adb, v85 :: v_dual_add_f32 v87, v87, v88
	s_delay_alu instid0(VALU_DEP_2) | instskip(NEXT) | instid1(VALU_DEP_2)
	v_add_f32_e32 v80, v90, v80
	v_fma_f32 v90, 0xbf1a4643, v93, -v92
	v_mul_f32_e32 v89, 0xbf06c442, v85
	s_delay_alu instid0(VALU_DEP_2) | instskip(NEXT) | instid1(VALU_DEP_2)
	v_dual_mul_f32 v85, 0x3f2c7751, v85 :: v_dual_add_f32 v82, v90, v82
	v_fmamk_f32 v91, v93, 0xbf59a7d5, v89
	v_fma_f32 v88, 0xbf59a7d5, v93, -v89
	s_delay_alu instid0(VALU_DEP_1) | instskip(NEXT) | instid1(VALU_DEP_3)
	v_dual_add_f32 v81, v88, v81 :: v_dual_sub_f32 v88, v43, v55
	v_add_f32_e32 v79, v91, v79
	v_add_f32_e32 v91, v42, v54
	v_fmamk_f32 v89, v93, 0xbf1a4643, v92
	s_delay_alu instid0(VALU_DEP_4) | instskip(NEXT) | instid1(VALU_DEP_2)
	v_mul_f32_e32 v92, 0xbf763a35, v88
	v_add_f32_e32 v86, v89, v86
	v_fmamk_f32 v89, v93, 0x3f3d2fb0, v85
	v_fma_f32 v85, 0x3f3d2fb0, v93, -v85
	s_delay_alu instid0(VALU_DEP_1) | instskip(SKIP_3) | instid1(VALU_DEP_3)
	v_add_f32_e32 v56, v85, v56
	v_fmamk_f32 v90, v91, 0xbe8c1d8e, v92
	v_fma_f32 v92, 0xbe8c1d8e, v91, -v92
	v_mul_f32_e32 v85, 0x3f2c7751, v88
	v_dual_add_f32 v75, v89, v75 :: v_dual_add_f32 v72, v90, v72
	s_delay_alu instid0(VALU_DEP_3) | instskip(NEXT) | instid1(VALU_DEP_3)
	v_dual_add_f32 v73, v92, v73 :: v_dual_mul_f32 v92, 0xbf65296c, v88
	v_fmamk_f32 v90, v91, 0x3f3d2fb0, v85
	v_fma_f32 v85, 0x3f3d2fb0, v91, -v85
	v_mul_f32_e32 v89, 0x3f06c442, v88
	s_delay_alu instid0(VALU_DEP_2) | instskip(SKIP_1) | instid1(VALU_DEP_3)
	v_dual_add_f32 v83, v90, v83 :: v_dual_add_f32 v74, v85, v74
	v_fma_f32 v85, 0x3ee437d1, v91, -v92
	v_fmamk_f32 v93, v91, 0xbf59a7d5, v89
	v_fma_f32 v89, 0xbf59a7d5, v91, -v89
	v_fmamk_f32 v90, v91, 0x3ee437d1, v92
	v_mul_f32_e32 v92, 0x3f7ee86f, v88
	v_add_f32_e32 v78, v85, v78
	v_add_f32_e32 v76, v93, v76
	v_add_f32_e32 v77, v89, v77
	v_mul_f32_e32 v89, 0xbe3c28d5, v88
	v_add_f32_e32 v84, v90, v84
	v_fma_f32 v90, 0x3dbcf732, v91, -v92
	s_delay_alu instid0(VALU_DEP_3) | instskip(SKIP_1) | instid1(VALU_DEP_1)
	v_fmamk_f32 v93, v91, 0xbf7ba420, v89
	v_fma_f32 v89, 0xbf7ba420, v91, -v89
	v_dual_add_f32 v81, v90, v81 :: v_dual_add_f32 v80, v89, v80
	v_mul_f32_e32 v89, 0xbeb8f4ab, v88
	s_delay_alu instid0(VALU_DEP_4) | instskip(NEXT) | instid1(VALU_DEP_2)
	v_add_f32_e32 v87, v93, v87
	v_dual_add_f32 v93, v36, v48 :: v_dual_fmamk_f32 v90, v91, 0x3f6eb680, v89
	v_fma_f32 v89, 0x3f6eb680, v91, -v89
	s_delay_alu instid0(VALU_DEP_2) | instskip(NEXT) | instid1(VALU_DEP_2)
	v_dual_fmamk_f32 v85, v91, 0x3dbcf732, v92 :: v_dual_add_f32 v86, v90, v86
	v_add_f32_e32 v82, v89, v82
	s_delay_alu instid0(VALU_DEP_2) | instskip(SKIP_1) | instid1(VALU_DEP_1)
	v_add_f32_e32 v79, v85, v79
	v_dual_mul_f32 v85, 0xbf4c4adb, v88 :: v_dual_sub_f32 v88, v37, v49
	v_fmamk_f32 v92, v91, 0xbf1a4643, v85
	s_delay_alu instid0(VALU_DEP_2) | instskip(NEXT) | instid1(VALU_DEP_2)
	v_mul_f32_e32 v94, 0xbf4c4adb, v88
	v_dual_mul_f32 v90, 0x3f763a35, v88 :: v_dual_add_f32 v75, v92, v75
	s_delay_alu instid0(VALU_DEP_2) | instskip(NEXT) | instid1(VALU_DEP_1)
	v_fmamk_f32 v89, v93, 0xbf1a4643, v94
	v_add_f32_e32 v72, v89, v72
	s_delay_alu instid0(VALU_DEP_3) | instskip(SKIP_2) | instid1(VALU_DEP_2)
	v_fmamk_f32 v89, v93, 0xbe8c1d8e, v90
	v_fma_f32 v90, 0xbe8c1d8e, v93, -v90
	v_mul_f32_e32 v92, 0xbf06c442, v88
	v_dual_add_f32 v76, v89, v76 :: v_dual_add_f32 v77, v90, v77
	s_delay_alu instid0(VALU_DEP_2) | instskip(SKIP_1) | instid1(VALU_DEP_2)
	v_fmamk_f32 v89, v93, 0xbf59a7d5, v92
	v_mul_f32_e32 v90, 0x3f7ee86f, v88
	v_add_f32_e32 v84, v89, v84
	s_delay_alu instid0(VALU_DEP_2) | instskip(NEXT) | instid1(VALU_DEP_1)
	v_fmamk_f32 v89, v93, 0x3dbcf732, v90
	v_add_f32_e32 v87, v89, v87
	v_fma_f32 v90, 0x3dbcf732, v93, -v90
	v_mul_f32_e32 v89, 0xbe3c28d5, v88
	s_delay_alu instid0(VALU_DEP_2) | instskip(NEXT) | instid1(VALU_DEP_2)
	v_add_f32_e32 v80, v90, v80
	v_fmamk_f32 v90, v93, 0xbf7ba420, v89
	s_delay_alu instid0(VALU_DEP_1) | instskip(SKIP_2) | instid1(VALU_DEP_2)
	v_add_f32_e32 v86, v90, v86
	v_fma_f32 v85, 0xbf1a4643, v91, -v85
	v_fma_f32 v91, 0xbf1a4643, v93, -v94
	v_add_f32_e32 v56, v85, v56
	v_mul_f32_e32 v85, 0xbeb8f4ab, v88
	s_delay_alu instid0(VALU_DEP_3) | instskip(NEXT) | instid1(VALU_DEP_2)
	v_add_f32_e32 v73, v91, v73
	v_fmamk_f32 v91, v93, 0x3f6eb680, v85
	v_fma_f32 v85, 0x3f6eb680, v93, -v85
	s_delay_alu instid0(VALU_DEP_1) | instskip(SKIP_3) | instid1(VALU_DEP_3)
	v_dual_add_f32 v83, v91, v83 :: v_dual_add_f32 v74, v85, v74
	v_fma_f32 v85, 0xbf59a7d5, v93, -v92
	v_mul_f32_e32 v91, 0xbf2c7751, v88
	v_mul_f32_e32 v88, 0x3f65296c, v88
	v_add_f32_e32 v78, v85, v78
	s_delay_alu instid0(VALU_DEP_3) | instskip(NEXT) | instid1(VALU_DEP_1)
	v_fmamk_f32 v85, v93, 0x3f3d2fb0, v91
	v_add_f32_e32 v79, v85, v79
	v_sub_f32_e32 v85, v23, v41
	s_delay_alu instid0(VALU_DEP_1) | instskip(SKIP_4) | instid1(VALU_DEP_4)
	v_mul_f32_e32 v92, 0xbf06c442, v85
	v_fmamk_f32 v94, v93, 0x3ee437d1, v88
	v_fma_f32 v91, 0x3f3d2fb0, v93, -v91
	v_fma_f32 v88, 0x3ee437d1, v93, -v88
	;; [unrolled: 1-line block ×3, first 2 shown]
	v_dual_mul_f32 v90, 0x3f65296c, v85 :: v_dual_add_f32 v75, v94, v75
	s_delay_alu instid0(VALU_DEP_4) | instskip(SKIP_3) | instid1(VALU_DEP_3)
	v_add_f32_e32 v81, v91, v81
	v_add_f32_e32 v91, v40, v22
	;; [unrolled: 1-line block ×4, first 2 shown]
	v_fma_f32 v88, 0xbf59a7d5, v91, -v92
	v_fmamk_f32 v89, v91, 0xbf59a7d5, v92
	v_fmamk_f32 v92, v91, 0x3ee437d1, v90
	v_fma_f32 v90, 0x3ee437d1, v91, -v90
	s_delay_alu instid0(VALU_DEP_4) | instskip(NEXT) | instid1(VALU_DEP_2)
	v_dual_add_f32 v73, v73, v88 :: v_dual_mul_f32 v88, 0x3f4c4adb, v85
	v_dual_add_f32 v76, v76, v92 :: v_dual_add_f32 v77, v77, v90
	v_mul_f32_e32 v92, 0xbeb8f4ab, v85
	s_delay_alu instid0(VALU_DEP_3) | instskip(SKIP_1) | instid1(VALU_DEP_2)
	v_fmamk_f32 v90, v91, 0xbf1a4643, v88
	v_fma_f32 v88, 0xbf1a4643, v91, -v88
	v_add_f32_e32 v84, v84, v90
	s_delay_alu instid0(VALU_DEP_4) | instskip(NEXT) | instid1(VALU_DEP_1)
	v_fmamk_f32 v90, v91, 0x3f6eb680, v92
	v_dual_add_f32 v78, v78, v88 :: v_dual_add_f32 v87, v87, v90
	v_fma_f32 v88, 0x3f6eb680, v91, -v92
	v_mul_f32_e32 v92, 0x3f2c7751, v85
	s_delay_alu instid0(VALU_DEP_2) | instskip(SKIP_1) | instid1(VALU_DEP_3)
	v_add_f32_e32 v80, v80, v88
	v_add_f32_e32 v72, v72, v89
	v_fmamk_f32 v88, v91, 0x3f3d2fb0, v92
	s_delay_alu instid0(VALU_DEP_1) | instskip(NEXT) | instid1(VALU_DEP_1)
	v_dual_mul_f32 v89, 0xbf7ee86f, v85 :: v_dual_add_f32 v86, v86, v88
	v_fmamk_f32 v93, v91, 0x3dbcf732, v89
	v_fma_f32 v89, 0x3dbcf732, v91, -v89
	s_delay_alu instid0(VALU_DEP_1) | instskip(SKIP_2) | instid1(VALU_DEP_1)
	v_add_f32_e32 v74, v74, v89
	v_mul_f32_e32 v89, 0xbe3c28d5, v85
	v_mul_f32_e32 v85, 0xbf763a35, v85
	v_fmamk_f32 v90, v91, 0xbe8c1d8e, v85
	v_fma_f32 v85, 0xbe8c1d8e, v91, -v85
	s_delay_alu instid0(VALU_DEP_2) | instskip(SKIP_4) | instid1(VALU_DEP_4)
	v_add_f32_e32 v75, v75, v90
	v_fma_f32 v88, 0x3f3d2fb0, v91, -v92
	v_dual_add_f32 v92, v32, v24 :: v_dual_add_f32 v83, v83, v93
	v_fmamk_f32 v93, v91, 0xbf7ba420, v89
	v_fma_f32 v89, 0xbf7ba420, v91, -v89
	v_add_f32_e32 v82, v82, v88
	v_add_f32_e32 v56, v56, v85
	s_delay_alu instid0(VALU_DEP_3) | instskip(SKIP_1) | instid1(VALU_DEP_1)
	v_add_f32_e32 v81, v81, v89
	v_sub_f32_e32 v89, v25, v33
	v_mul_f32_e32 v88, 0x3eb8f4ab, v89
	s_delay_alu instid0(VALU_DEP_1) | instskip(SKIP_1) | instid1(VALU_DEP_2)
	v_fmamk_f32 v91, v92, 0x3f6eb680, v88
	v_fma_f32 v88, 0x3f6eb680, v92, -v88
	v_dual_add_f32 v76, v76, v91 :: v_dual_add_f32 v79, v79, v93
	v_mul_f32_e32 v93, 0xbe3c28d5, v89
	s_delay_alu instid0(VALU_DEP_3) | instskip(SKIP_1) | instid1(VALU_DEP_3)
	v_add_f32_e32 v77, v77, v88
	v_mul_f32_e32 v91, 0xbf4c4adb, v89
	v_fmamk_f32 v90, v92, 0xbf7ba420, v93
	v_fma_f32 v85, 0xbf7ba420, v92, -v93
	s_delay_alu instid0(VALU_DEP_2) | instskip(NEXT) | instid1(VALU_DEP_2)
	v_dual_mul_f32 v93, 0xbf06c442, v89 :: v_dual_add_f32 v72, v72, v90
	v_add_f32_e32 v73, v73, v85
	s_delay_alu instid0(VALU_DEP_2) | instskip(SKIP_2) | instid1(VALU_DEP_2)
	v_fmamk_f32 v85, v92, 0xbf59a7d5, v93
	v_fma_f32 v88, 0xbf59a7d5, v92, -v93
	v_mul_f32_e32 v93, 0x3f65296c, v89
	v_dual_add_f32 v83, v83, v85 :: v_dual_add_f32 v74, v74, v88
	v_fmamk_f32 v88, v92, 0xbf1a4643, v91
	s_delay_alu instid0(VALU_DEP_1) | instskip(NEXT) | instid1(VALU_DEP_1)
	v_dual_mul_f32 v90, 0x3f2c7751, v89 :: v_dual_add_f32 v87, v87, v88
	v_fmamk_f32 v85, v92, 0x3f3d2fb0, v90
	v_fma_f32 v90, 0x3f3d2fb0, v92, -v90
	v_fmamk_f32 v88, v92, 0x3ee437d1, v93
	s_delay_alu instid0(VALU_DEP_3) | instskip(SKIP_1) | instid1(VALU_DEP_4)
	v_add_f32_e32 v84, v84, v85
	v_fma_f32 v85, 0xbf1a4643, v92, -v91
	v_add_f32_e32 v78, v78, v90
	v_fma_f32 v90, 0x3ee437d1, v92, -v93
	v_dual_mul_f32 v91, 0xbf763a35, v89 :: v_dual_add_f32 v88, v79, v88
	s_delay_alu instid0(VALU_DEP_4) | instskip(SKIP_1) | instid1(VALU_DEP_4)
	v_add_f32_e32 v80, v80, v85
	v_mul_f32_e32 v85, 0x3f7ee86f, v89
	v_add_f32_e32 v81, v81, v90
	s_delay_alu instid0(VALU_DEP_4)
	v_fmamk_f32 v89, v92, 0xbe8c1d8e, v91
	v_fma_f32 v90, 0xbe8c1d8e, v92, -v91
	v_mad_u32_u24 v79, 0x44, v70, 0
	v_fmamk_f32 v91, v92, 0x3dbcf732, v85
	v_fma_f32 v85, 0x3dbcf732, v92, -v85
	v_add_f32_e32 v86, v86, v89
	s_delay_alu instid0(VALU_DEP_3) | instskip(NEXT) | instid1(VALU_DEP_3)
	v_dual_add_f32 v82, v82, v90 :: v_dual_add_f32 v75, v75, v91
	v_add_f32_e32 v56, v56, v85
	ds_store_2addr_b32 v79, v71, v72 offset1:1
	ds_store_2addr_b32 v79, v76, v83 offset0:2 offset1:3
	ds_store_2addr_b32 v79, v84, v87 offset0:4 offset1:5
	ds_store_2addr_b32 v79, v88, v86 offset0:6 offset1:7
	ds_store_2addr_b32 v79, v75, v56 offset0:8 offset1:9
	ds_store_2addr_b32 v79, v82, v81 offset0:10 offset1:11
	ds_store_2addr_b32 v79, v80, v78 offset0:12 offset1:13
	ds_store_2addr_b32 v79, v74, v77 offset0:14 offset1:15
	ds_store_b32 v79, v73 offset:64
	s_and_saveexec_b32 s1, s0
	s_cbranch_execz .LBB0_15
; %bb.14:
	v_dual_add_f32 v82, v34, v44 :: v_dual_sub_f32 v73, v19, v39
	v_dual_sub_f32 v74, v35, v45 :: v_dual_add_f32 v81, v26, v46
	v_dual_sub_f32 v72, v27, v47 :: v_dual_add_f32 v77, v16, v30
	s_delay_alu instid0(VALU_DEP_3) | instskip(NEXT) | instid1(VALU_DEP_3)
	v_dual_mul_f32 v86, 0xbf7ba420, v82 :: v_dual_sub_f32 v71, v11, v21
	v_dual_add_f32 v78, v18, v38 :: v_dual_mul_f32 v87, 0x3f6eb680, v81
	s_delay_alu instid0(VALU_DEP_2) | instskip(SKIP_1) | instid1(VALU_DEP_3)
	v_dual_sub_f32 v56, v17, v31 :: v_dual_fmamk_f32 v75, v74, 0x3e3c28d5, v86
	v_fmac_f32_e32 v86, 0xbe3c28d5, v74
	v_mul_f32_e32 v88, 0xbf59a7d5, v78
	s_delay_alu instid0(VALU_DEP_4) | instskip(NEXT) | instid1(VALU_DEP_4)
	v_dual_fmamk_f32 v76, v72, 0xbeb8f4ab, v87 :: v_dual_add_f32 v83, v6, v14
	v_dual_add_f32 v84, v12, v75 :: v_dual_mul_f32 v89, 0x3f3d2fb0, v77
	s_delay_alu instid0(VALU_DEP_3) | instskip(SKIP_1) | instid1(VALU_DEP_3)
	v_fmamk_f32 v85, v73, 0x3f06c442, v88
	v_dual_fmac_f32 v87, 0x3eb8f4ab, v72 :: v_dual_add_f32 v86, v12, v86
	v_add_f32_e32 v90, v84, v76
	v_dual_add_f32 v80, v10, v20 :: v_dual_sub_f32 v75, v7, v15
	v_dual_add_f32 v84, v0, v8 :: v_dual_mul_f32 v93, 0x3ee437d1, v83
	s_delay_alu instid0(VALU_DEP_3)
	v_add_f32_e32 v90, v90, v85
	v_dual_add_f32 v85, v2, v4 :: v_dual_fmac_f32 v88, 0xbf06c442, v73
	v_add_f32_e32 v86, v86, v87
	v_dual_sub_f32 v76, v1, v9 :: v_dual_mul_f32 v91, 0xbf1a4643, v80
	v_fmamk_f32 v95, v75, 0xbf65296c, v93
	v_fmamk_f32 v92, v56, 0xbf2c7751, v89
	v_fmac_f32_e32 v89, 0x3f2c7751, v56
	v_add_f32_e32 v86, v86, v88
	v_mul_f32_e32 v98, 0x3dbcf732, v78
	s_delay_alu instid0(VALU_DEP_4) | instskip(SKIP_1) | instid1(VALU_DEP_4)
	v_dual_fmac_f32 v93, 0x3f65296c, v75 :: v_dual_add_f32 v90, v90, v92
	v_mul_f32_e32 v102, 0x3f3d2fb0, v78
	v_add_f32_e32 v86, v86, v89
	v_fmamk_f32 v94, v71, 0x3f4c4adb, v91
	v_fmac_f32_e32 v91, 0xbf4c4adb, v71
	v_mul_f32_e32 v104, 0xbe8c1d8e, v78
	v_mul_f32_e32 v105, 0x3f6eb680, v77
	;; [unrolled: 1-line block ×3, first 2 shown]
	s_delay_alu instid0(VALU_DEP_4) | instskip(NEXT) | instid1(VALU_DEP_1)
	v_dual_add_f32 v91, v86, v91 :: v_dual_mul_f32 v92, 0xbe8c1d8e, v84
	v_dual_add_f32 v90, v90, v94 :: v_dual_add_f32 v91, v91, v93
	s_delay_alu instid0(VALU_DEP_2) | instskip(SKIP_1) | instid1(VALU_DEP_3)
	v_fmamk_f32 v96, v76, 0x3f763a35, v92
	v_fmac_f32_e32 v92, 0xbf763a35, v76
	v_dual_mul_f32 v94, 0xbf59a7d5, v82 :: v_dual_add_f32 v87, v90, v95
	v_mul_f32_e32 v95, 0x3ee437d1, v81
	s_delay_alu instid0(VALU_DEP_3) | instskip(NEXT) | instid1(VALU_DEP_3)
	v_dual_mul_f32 v90, 0x3dbcf732, v85 :: v_dual_add_f32 v91, v92, v91
	v_dual_fmamk_f32 v97, v74, 0x3f06c442, v94 :: v_dual_add_f32 v88, v96, v87
	v_dual_sub_f32 v87, v3, v5 :: v_dual_fmac_f32 v94, 0xbf06c442, v74
	s_delay_alu instid0(VALU_DEP_2) | instskip(SKIP_1) | instid1(VALU_DEP_3)
	v_dual_mul_f32 v93, 0xbf7ba420, v83 :: v_dual_add_f32 v96, v12, v97
	v_fmamk_f32 v97, v72, 0xbf65296c, v95
	v_fmamk_f32 v89, v87, 0xbf7ee86f, v90
	s_delay_alu instid0(VALU_DEP_4) | instskip(NEXT) | instid1(VALU_DEP_3)
	v_dual_mul_f32 v99, 0xbf1a4643, v77 :: v_dual_add_f32 v94, v12, v94
	v_dual_fmac_f32 v95, 0x3f65296c, v72 :: v_dual_add_f32 v96, v96, v97
	v_fmamk_f32 v97, v73, 0x3f7ee86f, v98
	s_delay_alu instid0(VALU_DEP_3) | instskip(NEXT) | instid1(VALU_DEP_3)
	v_dual_add_f32 v86, v89, v88 :: v_dual_fmamk_f32 v89, v56, 0xbf4c4adb, v99
	v_add_f32_e32 v94, v94, v95
	v_mul_f32_e32 v92, 0x3f3d2fb0, v84
	s_delay_alu instid0(VALU_DEP_4) | instskip(SKIP_3) | instid1(VALU_DEP_4)
	v_add_f32_e32 v88, v96, v97
	v_mul_f32_e32 v96, 0x3f6eb680, v80
	v_mul_f32_e32 v95, 0xbf1a4643, v82
	v_fmac_f32_e32 v90, 0x3f7ee86f, v87
	v_dual_fmac_f32 v99, 0x3f4c4adb, v56 :: v_dual_add_f32 v88, v88, v89
	s_delay_alu instid0(VALU_DEP_2) | instskip(NEXT) | instid1(VALU_DEP_1)
	v_dual_fmamk_f32 v89, v71, 0x3eb8f4ab, v96 :: v_dual_add_f32 v90, v90, v91
	v_dual_add_f32 v88, v88, v89 :: v_dual_fmamk_f32 v89, v75, 0x3e3c28d5, v93
	s_delay_alu instid0(VALU_DEP_1) | instskip(SKIP_1) | instid1(VALU_DEP_1)
	v_add_f32_e32 v88, v88, v89
	v_fmamk_f32 v89, v76, 0xbf2c7751, v92
	v_dual_add_f32 v88, v89, v88 :: v_dual_fmamk_f32 v89, v74, 0x3f4c4adb, v95
	v_fmac_f32_e32 v95, 0xbf4c4adb, v74
	s_delay_alu instid0(VALU_DEP_2) | instskip(NEXT) | instid1(VALU_DEP_2)
	v_add_f32_e32 v89, v12, v89
	v_dual_add_f32 v95, v12, v95 :: v_dual_fmac_f32 v98, 0xbf7ee86f, v73
	s_delay_alu instid0(VALU_DEP_1) | instskip(NEXT) | instid1(VALU_DEP_1)
	v_dual_add_f32 v94, v94, v98 :: v_dual_mul_f32 v91, 0xbe8c1d8e, v81
	v_add_f32_e32 v94, v94, v99
	s_delay_alu instid0(VALU_DEP_2) | instskip(SKIP_2) | instid1(VALU_DEP_3)
	v_fmamk_f32 v98, v72, 0xbf763a35, v91
	v_mul_f32_e32 v99, 0x3f6eb680, v78
	v_fmac_f32_e32 v91, 0x3f763a35, v72
	v_dual_fmac_f32 v96, 0xbeb8f4ab, v71 :: v_dual_add_f32 v89, v89, v98
	s_delay_alu instid0(VALU_DEP_2) | instskip(SKIP_1) | instid1(VALU_DEP_3)
	v_dual_fmamk_f32 v98, v73, 0x3eb8f4ab, v99 :: v_dual_add_f32 v91, v95, v91
	v_fmac_f32_e32 v99, 0xbeb8f4ab, v73
	v_dual_mul_f32 v97, 0xbe8c1d8e, v85 :: v_dual_add_f32 v94, v94, v96
	v_mul_f32_e32 v95, 0xbf59a7d5, v81
	s_delay_alu instid0(VALU_DEP_3) | instskip(NEXT) | instid1(VALU_DEP_3)
	v_add_f32_e32 v91, v91, v99
	v_fmamk_f32 v96, v87, 0x3f763a35, v97
	v_fmac_f32_e32 v93, 0xbe3c28d5, v75
	s_delay_alu instid0(VALU_DEP_4) | instskip(SKIP_1) | instid1(VALU_DEP_4)
	v_fmamk_f32 v99, v72, 0xbf06c442, v95
	v_mul_f32_e32 v100, 0xbf59a7d5, v77
	v_dual_fmac_f32 v97, 0xbf763a35, v87 :: v_dual_add_f32 v88, v96, v88
	s_delay_alu instid0(VALU_DEP_4) | instskip(NEXT) | instid1(VALU_DEP_3)
	v_dual_add_f32 v93, v94, v93 :: v_dual_mul_f32 v96, 0x3dbcf732, v80
	v_fmamk_f32 v94, v56, 0x3f06c442, v100
	v_fmac_f32_e32 v100, 0xbf06c442, v56
	v_fmac_f32_e32 v95, 0x3f06c442, v72
	s_delay_alu instid0(VALU_DEP_2) | instskip(SKIP_2) | instid1(VALU_DEP_2)
	v_add_f32_e32 v91, v91, v100
	v_dual_add_f32 v89, v89, v98 :: v_dual_mul_f32 v98, 0xbf7ba420, v84
	v_mul_f32_e32 v100, 0x3ee437d1, v77
	v_fmamk_f32 v101, v76, 0x3e3c28d5, v98
	v_fmac_f32_e32 v92, 0x3f2c7751, v76
	s_delay_alu instid0(VALU_DEP_1) | instskip(SKIP_1) | instid1(VALU_DEP_2)
	v_dual_add_f32 v92, v92, v93 :: v_dual_fmamk_f32 v93, v71, 0xbf7ee86f, v96
	v_fmac_f32_e32 v96, 0x3f7ee86f, v71
	v_dual_add_f32 v92, v97, v92 :: v_dual_mul_f32 v97, 0xbe8c1d8e, v82
	s_delay_alu instid0(VALU_DEP_2) | instskip(SKIP_1) | instid1(VALU_DEP_1)
	v_add_f32_e32 v91, v91, v96
	v_dual_add_f32 v89, v89, v94 :: v_dual_fmamk_f32 v96, v56, 0x3f65296c, v100
	v_dual_mul_f32 v94, 0x3f3d2fb0, v83 :: v_dual_add_f32 v89, v89, v93
	s_delay_alu instid0(VALU_DEP_1) | instskip(NEXT) | instid1(VALU_DEP_1)
	v_fmamk_f32 v93, v75, 0x3f2c7751, v94
	v_add_f32_e32 v89, v89, v93
	v_fmamk_f32 v93, v74, 0x3f763a35, v97
	v_fmac_f32_e32 v97, 0xbf763a35, v74
	s_delay_alu instid0(VALU_DEP_2) | instskip(NEXT) | instid1(VALU_DEP_2)
	v_add_f32_e32 v93, v12, v93
	v_add_f32_e32 v97, v12, v97
	s_delay_alu instid0(VALU_DEP_2) | instskip(SKIP_1) | instid1(VALU_DEP_3)
	v_add_f32_e32 v93, v93, v99
	v_fmamk_f32 v99, v73, 0xbf2c7751, v102
	v_add_f32_e32 v95, v97, v95
	v_mul_f32_e32 v97, 0xbf7ba420, v81
	s_delay_alu instid0(VALU_DEP_3) | instskip(SKIP_1) | instid1(VALU_DEP_2)
	v_add_f32_e32 v93, v93, v99
	v_mul_f32_e32 v99, 0xbf7ba420, v80
	v_dual_add_f32 v93, v93, v96 :: v_dual_fmac_f32 v94, 0xbf2c7751, v75
	s_delay_alu instid0(VALU_DEP_1) | instskip(SKIP_1) | instid1(VALU_DEP_4)
	v_dual_mul_f32 v96, 0x3dbcf732, v83 :: v_dual_add_f32 v91, v91, v94
	v_fmac_f32_e32 v98, 0xbe3c28d5, v76
	v_dual_fmamk_f32 v94, v71, 0x3e3c28d5, v99 :: v_dual_add_f32 v89, v101, v89
	v_mul_f32_e32 v101, 0x3ee437d1, v85
	s_delay_alu instid0(VALU_DEP_3) | instskip(NEXT) | instid1(VALU_DEP_3)
	v_add_f32_e32 v91, v98, v91
	v_dual_add_f32 v93, v93, v94 :: v_dual_fmamk_f32 v94, v75, 0xbf7ee86f, v96
	s_delay_alu instid0(VALU_DEP_1) | instskip(NEXT) | instid1(VALU_DEP_4)
	v_add_f32_e32 v93, v93, v94
	v_dual_fmamk_f32 v103, v87, 0xbf65296c, v101 :: v_dual_fmac_f32 v100, 0xbf65296c, v56
	v_mul_f32_e32 v98, 0x3f6eb680, v84
	v_fmac_f32_e32 v102, 0x3f2c7751, v73
	v_fmac_f32_e32 v101, 0x3f65296c, v87
	s_delay_alu instid0(VALU_DEP_4) | instskip(SKIP_1) | instid1(VALU_DEP_4)
	v_add_f32_e32 v89, v103, v89
	v_mul_f32_e32 v103, 0x3dbcf732, v82
	v_dual_fmamk_f32 v94, v76, 0x3eb8f4ab, v98 :: v_dual_add_f32 v95, v95, v102
	v_fmac_f32_e32 v96, 0x3f7ee86f, v75
	v_fmamk_f32 v102, v72, 0x3e3c28d5, v97
	v_fmac_f32_e32 v97, 0xbe3c28d5, v72
	s_delay_alu instid0(VALU_DEP_4)
	v_add_f32_e32 v93, v94, v93
	v_dual_add_f32 v95, v95, v100 :: v_dual_fmamk_f32 v94, v74, 0x3f7ee86f, v103
	v_fmac_f32_e32 v103, 0xbf7ee86f, v74
	v_add_f32_e32 v91, v101, v91
	v_mul_f32_e32 v101, 0xbf1a4643, v85
	v_fmac_f32_e32 v98, 0xbeb8f4ab, v76
	v_add_f32_e32 v94, v12, v94
	s_delay_alu instid0(VALU_DEP_1) | instskip(SKIP_2) | instid1(VALU_DEP_2)
	v_add_f32_e32 v94, v94, v102
	v_fmamk_f32 v102, v73, 0xbf763a35, v104
	v_fmac_f32_e32 v104, 0x3f763a35, v73
	v_add_f32_e32 v94, v94, v102
	v_dual_add_f32 v102, v12, v103 :: v_dual_mul_f32 v103, 0xbf1a4643, v81
	v_mul_f32_e32 v81, 0x3f3d2fb0, v81
	s_delay_alu instid0(VALU_DEP_2) | instskip(NEXT) | instid1(VALU_DEP_1)
	v_add_f32_e32 v97, v102, v97
	v_dual_add_f32 v97, v97, v104 :: v_dual_mul_f32 v104, 0xbf7ba420, v78
	v_fmac_f32_e32 v99, 0xbe3c28d5, v71
	s_delay_alu instid0(VALU_DEP_1) | instskip(SKIP_2) | instid1(VALU_DEP_2)
	v_add_f32_e32 v95, v95, v99
	v_fmamk_f32 v99, v56, 0xbeb8f4ab, v105
	v_fmac_f32_e32 v105, 0x3eb8f4ab, v56
	v_dual_add_f32 v95, v95, v96 :: v_dual_add_f32 v94, v94, v99
	v_mul_f32_e32 v99, 0xbf59a7d5, v83
	s_delay_alu instid0(VALU_DEP_2) | instskip(SKIP_1) | instid1(VALU_DEP_2)
	v_dual_add_f32 v95, v98, v95 :: v_dual_mul_f32 v98, 0xbf1a4643, v84
	v_fmamk_f32 v100, v87, 0x3f4c4adb, v101
	v_dual_fmac_f32 v101, 0xbf4c4adb, v87 :: v_dual_fmamk_f32 v102, v76, 0xbf4c4adb, v98
	s_delay_alu instid0(VALU_DEP_1) | instskip(NEXT) | instid1(VALU_DEP_3)
	v_dual_fmac_f32 v98, 0x3f4c4adb, v76 :: v_dual_add_f32 v95, v101, v95
	v_dual_add_f32 v93, v100, v93 :: v_dual_mul_f32 v100, 0x3ee437d1, v80
	s_delay_alu instid0(VALU_DEP_1) | instskip(SKIP_1) | instid1(VALU_DEP_2)
	v_fmamk_f32 v96, v71, 0x3f65296c, v100
	v_dual_fmac_f32 v100, 0xbf65296c, v71 :: v_dual_add_f32 v97, v97, v105
	v_dual_mul_f32 v105, 0x3f3d2fb0, v85 :: v_dual_add_f32 v94, v94, v96
	s_delay_alu instid0(VALU_DEP_2) | instskip(NEXT) | instid1(VALU_DEP_1)
	v_dual_fmamk_f32 v96, v75, 0x3f06c442, v99 :: v_dual_add_f32 v97, v97, v100
	v_add_f32_e32 v94, v94, v96
	v_mul_f32_e32 v96, 0x3ee437d1, v82
	s_delay_alu instid0(VALU_DEP_2) | instskip(NEXT) | instid1(VALU_DEP_2)
	v_add_f32_e32 v94, v102, v94
	v_fmamk_f32 v101, v74, 0x3f65296c, v96
	v_fmamk_f32 v102, v72, 0x3f4c4adb, v103
	v_fmac_f32_e32 v103, 0xbf4c4adb, v72
	s_delay_alu instid0(VALU_DEP_3) | instskip(NEXT) | instid1(VALU_DEP_1)
	v_dual_add_f32 v101, v12, v101 :: v_dual_fmac_f32 v96, 0xbf65296c, v74
	v_add_f32_e32 v100, v101, v102
	s_delay_alu instid0(VALU_DEP_2) | instskip(SKIP_3) | instid1(VALU_DEP_4)
	v_dual_add_f32 v96, v12, v96 :: v_dual_fmamk_f32 v101, v73, 0xbe3c28d5, v104
	v_fmac_f32_e32 v104, 0x3e3c28d5, v73
	v_mul_f32_e32 v102, 0xbe8c1d8e, v77
	v_fmamk_f32 v106, v87, 0xbf2c7751, v105
	v_dual_add_f32 v96, v96, v103 :: v_dual_mul_f32 v103, 0xbf59a7d5, v85
	s_delay_alu instid0(VALU_DEP_1) | instskip(NEXT) | instid1(VALU_DEP_1)
	v_dual_add_f32 v96, v96, v104 :: v_dual_fmac_f32 v99, 0xbf06c442, v75
	v_add_f32_e32 v97, v97, v99
	v_add_f32_e32 v99, v100, v101
	v_fmamk_f32 v100, v56, 0xbf763a35, v102
	v_dual_mul_f32 v101, 0x3f3d2fb0, v80 :: v_dual_add_f32 v94, v106, v94
	s_delay_alu instid0(VALU_DEP_4) | instskip(NEXT) | instid1(VALU_DEP_3)
	v_dual_add_f32 v97, v98, v97 :: v_dual_mul_f32 v106, 0x3dbcf732, v84
	v_add_f32_e32 v98, v99, v100
	s_delay_alu instid0(VALU_DEP_3) | instskip(SKIP_2) | instid1(VALU_DEP_2)
	v_fmamk_f32 v99, v71, 0xbf2c7751, v101
	v_mul_f32_e32 v100, 0x3f6eb680, v83
	v_fmac_f32_e32 v101, 0x3f2c7751, v71
	v_dual_add_f32 v98, v98, v99 :: v_dual_fmamk_f32 v99, v75, 0x3eb8f4ab, v100
	s_delay_alu instid0(VALU_DEP_1) | instskip(SKIP_1) | instid1(VALU_DEP_2)
	v_dual_add_f32 v98, v98, v99 :: v_dual_fmamk_f32 v99, v76, 0x3f7ee86f, v106
	v_fmac_f32_e32 v106, 0xbf7ee86f, v76
	v_add_f32_e32 v98, v99, v98
	v_fmamk_f32 v99, v87, 0x3f06c442, v103
	s_delay_alu instid0(VALU_DEP_1) | instskip(NEXT) | instid1(VALU_DEP_1)
	v_dual_add_f32 v98, v99, v98 :: v_dual_fmac_f32 v105, 0x3f2c7751, v87
	v_add_f32_e32 v97, v105, v97
	v_mul_f32_e32 v105, 0x3f3d2fb0, v82
	v_mul_f32_e32 v82, 0x3f6eb680, v82
	s_delay_alu instid0(VALU_DEP_2) | instskip(SKIP_1) | instid1(VALU_DEP_2)
	v_fmamk_f32 v104, v74, 0x3f2c7751, v105
	v_fmac_f32_e32 v105, 0xbf2c7751, v74
	v_add_f32_e32 v99, v12, v104
	v_fmac_f32_e32 v102, 0x3f763a35, v56
	v_mul_f32_e32 v104, 0xbf1a4643, v78
	v_mul_f32_e32 v78, 0x3ee437d1, v78
	s_delay_alu instid0(VALU_DEP_3) | instskip(SKIP_1) | instid1(VALU_DEP_2)
	v_add_f32_e32 v96, v96, v102
	v_fmamk_f32 v102, v72, 0x3f7ee86f, v107
	v_dual_fmac_f32 v107, 0xbf7ee86f, v72 :: v_dual_add_f32 v96, v96, v101
	s_delay_alu instid0(VALU_DEP_2) | instskip(SKIP_3) | instid1(VALU_DEP_4)
	v_dual_add_f32 v99, v99, v102 :: v_dual_fmac_f32 v100, 0xbeb8f4ab, v75
	v_fmamk_f32 v101, v73, 0x3f4c4adb, v104
	v_mul_f32_e32 v102, 0xbf7ba420, v77
	v_fmac_f32_e32 v104, 0xbf4c4adb, v73
	v_dual_mul_f32 v77, 0x3dbcf732, v77 :: v_dual_add_f32 v96, v96, v100
	v_add_f32_e32 v100, v12, v105
	v_add_f32_e32 v99, v99, v101
	v_fmamk_f32 v101, v56, 0x3e3c28d5, v102
	v_mul_f32_e32 v105, 0xbf59a7d5, v80
	v_add_f32_e32 v96, v106, v96
	v_add_f32_e32 v100, v100, v107
	v_mul_f32_e32 v107, 0xbe8c1d8e, v83
	v_add_f32_e32 v99, v99, v101
	v_fmamk_f32 v101, v71, 0xbf06c442, v105
	v_mul_f32_e32 v80, 0xbe8c1d8e, v80
	v_add_f32_e32 v100, v100, v104
	s_delay_alu instid0(VALU_DEP_3) | instskip(SKIP_1) | instid1(VALU_DEP_1)
	v_dual_add_f32 v104, v12, v34 :: v_dual_add_f32 v99, v99, v101
	v_fmamk_f32 v101, v75, 0xbf763a35, v107
	v_add_f32_e32 v99, v99, v101
	s_delay_alu instid0(VALU_DEP_3) | instskip(NEXT) | instid1(VALU_DEP_1)
	v_dual_add_f32 v101, v104, v26 :: v_dual_mul_f32 v104, 0x3f6eb680, v85
	v_add_f32_e32 v101, v101, v18
	s_delay_alu instid0(VALU_DEP_1) | instskip(NEXT) | instid1(VALU_DEP_1)
	v_add_f32_e32 v101, v101, v16
	v_dual_fmac_f32 v102, 0xbe3c28d5, v56 :: v_dual_add_f32 v101, v101, v10
	v_mul_f32_e32 v106, 0x3ee437d1, v84
	s_delay_alu instid0(VALU_DEP_2) | instskip(NEXT) | instid1(VALU_DEP_2)
	v_add_f32_e32 v100, v100, v102
	v_dual_add_f32 v101, v101, v6 :: v_dual_fmamk_f32 v102, v76, 0xbf65296c, v106
	s_delay_alu instid0(VALU_DEP_1) | instskip(NEXT) | instid1(VALU_DEP_2)
	v_add_f32_e32 v101, v101, v0
	v_dual_add_f32 v99, v102, v99 :: v_dual_fmamk_f32 v102, v87, 0xbeb8f4ab, v104
	s_delay_alu instid0(VALU_DEP_1) | instskip(SKIP_2) | instid1(VALU_DEP_2)
	v_add_f32_e32 v99, v102, v99
	v_fmamk_f32 v102, v74, 0x3eb8f4ab, v82
	v_fmac_f32_e32 v82, 0xbeb8f4ab, v74
	v_add_f32_e32 v74, v12, v102
	v_fmamk_f32 v102, v72, 0x3f2c7751, v81
	s_delay_alu instid0(VALU_DEP_3) | instskip(SKIP_1) | instid1(VALU_DEP_3)
	v_dual_add_f32 v12, v12, v82 :: v_dual_fmac_f32 v81, 0xbf2c7751, v72
	v_add_f32_e32 v82, v101, v2
	v_add_f32_e32 v72, v74, v102
	v_fmamk_f32 v74, v73, 0x3f65296c, v78
	s_delay_alu instid0(VALU_DEP_4) | instskip(NEXT) | instid1(VALU_DEP_4)
	v_add_f32_e32 v12, v12, v81
	v_dual_fmac_f32 v78, 0xbf65296c, v73 :: v_dual_add_f32 v73, v82, v4
	s_delay_alu instid0(VALU_DEP_3) | instskip(SKIP_1) | instid1(VALU_DEP_3)
	v_dual_fmac_f32 v105, 0x3f06c442, v71 :: v_dual_add_f32 v72, v72, v74
	v_fmamk_f32 v74, v56, 0x3f7ee86f, v77
	v_dual_add_f32 v12, v12, v78 :: v_dual_fmac_f32 v77, 0xbf7ee86f, v56
	s_delay_alu instid0(VALU_DEP_4) | instskip(NEXT) | instid1(VALU_DEP_3)
	v_dual_add_f32 v56, v73, v8 :: v_dual_fmac_f32 v107, 0x3f763a35, v75
	v_dual_add_f32 v72, v72, v74 :: v_dual_fmac_f32 v103, 0xbf06c442, v87
	s_delay_alu instid0(VALU_DEP_3) | instskip(SKIP_1) | instid1(VALU_DEP_4)
	v_dual_add_f32 v12, v12, v77 :: v_dual_fmamk_f32 v73, v71, 0x3f763a35, v80
	v_mul_f32_e32 v74, 0xbf1a4643, v83
	v_add_f32_e32 v56, v56, v14
	v_fmac_f32_e32 v80, 0xbf763a35, v71
	v_add_f32_e32 v100, v100, v105
	v_fmac_f32_e32 v104, 0x3eb8f4ab, v87
	v_add_f32_e32 v96, v103, v96
	v_add_f32_e32 v56, v20, v56
	v_add_f32_e32 v12, v12, v80
	v_dual_add_f32 v71, v72, v73 :: v_dual_fmamk_f32 v72, v75, 0x3f4c4adb, v74
	v_dual_mul_f32 v73, 0xbf59a7d5, v84 :: v_dual_add_f32 v100, v100, v107
	v_fmac_f32_e32 v74, 0xbf4c4adb, v75
	v_dual_add_f32 v56, v30, v56 :: v_dual_mul_f32 v75, 0xbf7ba420, v85
	s_delay_alu instid0(VALU_DEP_3) | instskip(SKIP_1) | instid1(VALU_DEP_4)
	v_dual_add_f32 v71, v71, v72 :: v_dual_fmamk_f32 v72, v76, 0x3f06c442, v73
	v_fmac_f32_e32 v106, 0x3f65296c, v76
	v_dual_add_f32 v12, v12, v74 :: v_dual_fmac_f32 v73, 0xbf06c442, v76
	s_delay_alu instid0(VALU_DEP_3) | instskip(NEXT) | instid1(VALU_DEP_3)
	v_dual_add_f32 v56, v38, v56 :: v_dual_add_f32 v71, v72, v71
	v_add_f32_e32 v100, v106, v100
	v_fmamk_f32 v72, v87, 0x3e3c28d5, v75
	s_delay_alu instid0(VALU_DEP_4) | instskip(NEXT) | instid1(VALU_DEP_3)
	v_dual_fmac_f32 v75, 0xbe3c28d5, v87 :: v_dual_add_f32 v12, v73, v12
	v_dual_add_f32 v74, v104, v100 :: v_dual_add_nc_u32 v73, 0xd9c, v79
	s_delay_alu instid0(VALU_DEP_3)
	v_add_f32_e32 v71, v72, v71
	v_add_nc_u32_e32 v72, 0xd94, v79
	v_add_f32_e32 v56, v46, v56
	ds_store_2addr_b32 v72, v74, v96 offset1:1
	ds_store_2addr_b32 v73, v97, v95 offset1:1
	v_add_nc_u32_e32 v73, 0xdac, v79
	v_add_nc_u32_e32 v72, 0xda4, v79
	;; [unrolled: 1-line block ×4, first 2 shown]
	v_dual_add_f32 v12, v75, v12 :: v_dual_add_nc_u32 v77, 0xdc4, v79
	v_dual_add_f32 v56, v44, v56 :: v_dual_add_nc_u32 v75, 0xd8c, v79
	ds_store_2addr_b32 v72, v91, v92 offset1:1
	ds_store_2addr_b32 v73, v90, v86 offset1:1
	ds_store_2addr_b32 v74, v88, v89 offset1:1
	ds_store_2addr_b32 v76, v93, v94 offset1:1
	ds_store_2addr_b32 v77, v98, v99 offset1:1
	ds_store_2addr_b32 v75, v56, v12 offset1:1
	ds_store_b32 v79, v71 offset:3532
.LBB0_15:
	s_wait_alu 0xfffe
	s_or_b32 exec_lo, exec_lo, s1
	v_sub_f32_e32 v56, v62, v66
	v_add_f32_e32 v12, v57, v63
	v_dual_add_f32 v62, v63, v67 :: v_dual_add_f32 v63, v61, v69
	v_sub_f32_e32 v52, v52, v64
	s_delay_alu instid0(VALU_DEP_3)
	v_dual_mul_f32 v71, 0xbf7ee86f, v56 :: v_dual_add_f32 v12, v12, v61
	v_mul_f32_e32 v73, 0xbf4c4adb, v56
	v_mul_f32_e32 v61, 0xbeb8f4ab, v56
	v_sub_f32_e32 v60, v60, v68
	v_mul_f32_e32 v68, 0xbf65296c, v56
	v_fma_f32 v84, 0x3dbcf732, v62, -v71
	v_fma_f32 v86, 0xbf1a4643, v62, -v73
	v_fma_f32 v80, 0x3f6eb680, v62, -v61
	v_dual_fmac_f32 v61, 0x3f6eb680, v62 :: v_dual_add_f32 v12, v12, v53
	v_mul_f32_e32 v75, 0xbf2c7751, v60
	v_mul_f32_e32 v77, 0xbf4c4adb, v60
	v_fma_f32 v83, 0x3ee437d1, v62, -v68
	s_delay_alu instid0(VALU_DEP_4) | instskip(SKIP_2) | instid1(VALU_DEP_4)
	v_dual_mul_f32 v66, 0xbf2c7751, v56 :: v_dual_add_f32 v61, v61, v57
	v_dual_add_f32 v12, v12, v51 :: v_dual_mul_f32 v81, 0x3f06c442, v60
	v_add_f32_e32 v80, v80, v57
	v_add_f32_e32 v83, v83, v57
	s_delay_alu instid0(VALU_DEP_3) | instskip(SKIP_3) | instid1(VALU_DEP_4)
	v_dual_fmac_f32 v71, 0x3dbcf732, v62 :: v_dual_add_f32 v12, v12, v43
	v_mul_f32_e32 v72, 0xbf763a35, v56
	v_fmac_f32_e32 v68, 0x3ee437d1, v62
	v_fma_f32 v82, 0x3f3d2fb0, v62, -v66
	v_dual_fmac_f32 v73, 0xbf1a4643, v62 :: v_dual_add_f32 v12, v12, v37
	v_add_f32_e32 v71, v71, v57
	v_fma_f32 v85, 0xbe8c1d8e, v62, -v72
	v_mul_f32_e32 v74, 0xbf06c442, v56
	s_delay_alu instid0(VALU_DEP_4)
	v_dual_mul_f32 v56, 0xbe3c28d5, v56 :: v_dual_add_f32 v73, v73, v57
	v_add_f32_e32 v12, v12, v23
	v_fmac_f32_e32 v66, 0x3f3d2fb0, v62
	v_fma_f32 v90, 0xbf1a4643, v63, -v77
	v_fmac_f32_e32 v72, 0xbe8c1d8e, v62
	v_fma_f32 v88, 0xbf7ba420, v62, -v56
	v_dual_add_f32 v12, v12, v25 :: v_dual_fmac_f32 v77, 0xbf1a4643, v63
	v_fmac_f32_e32 v56, 0xbf7ba420, v62
	v_add_f32_e32 v68, v68, v57
	v_add_f32_e32 v85, v85, v57
	v_fma_f32 v87, 0xbf59a7d5, v62, -v74
	v_fmac_f32_e32 v74, 0xbf59a7d5, v62
	v_add_f32_e32 v12, v12, v33
	v_fma_f32 v62, 0x3f3d2fb0, v63, -v75
	v_fmac_f32_e32 v75, 0x3f3d2fb0, v63
	v_mul_f32_e32 v78, 0xbe3c28d5, v60
	v_dual_mul_f32 v76, 0xbf7ee86f, v60 :: v_dual_add_f32 v87, v87, v57
	s_delay_alu instid0(VALU_DEP_3) | instskip(SKIP_4) | instid1(VALU_DEP_4)
	v_dual_sub_f32 v50, v50, v58 :: v_dual_add_f32 v61, v75, v61
	v_fma_f32 v75, 0xbf59a7d5, v63, -v81
	v_dual_fmac_f32 v81, 0xbf59a7d5, v63 :: v_dual_add_f32 v12, v41, v12
	v_add_f32_e32 v88, v88, v57
	v_fma_f32 v89, 0x3dbcf732, v63, -v76
	v_dual_add_f32 v75, v75, v85 :: v_dual_fmac_f32 v76, 0x3dbcf732, v63
	v_add_f32_e32 v53, v53, v65
	v_add_f32_e32 v12, v12, v49
	v_dual_add_f32 v74, v74, v57 :: v_dual_add_f32 v51, v51, v59
	v_add_f32_e32 v82, v82, v57
	v_add_f32_e32 v66, v66, v57
	s_delay_alu instid0(VALU_DEP_4)
	v_add_f32_e32 v12, v12, v55
	v_add_f32_e32 v84, v84, v57
	;; [unrolled: 1-line block ×5, first 2 shown]
	v_dual_add_f32 v12, v12, v59 :: v_dual_mul_f32 v59, 0xbf7ee86f, v50
	v_dual_sub_f32 v42, v42, v54 :: v_dual_add_f32 v23, v41, v23
	v_sub_f32_e32 v36, v36, v48
	s_delay_alu instid0(VALU_DEP_3)
	v_dual_add_f32 v12, v12, v65 :: v_dual_mul_f32 v65, 0xbf65296c, v52
	v_sub_f32_e32 v22, v22, v40
	v_sub_f32_e32 v24, v24, v32
	global_wb scope:SCOPE_SE
	s_wait_dscnt 0x0
	v_dual_add_f32 v12, v12, v69 :: v_dual_add_f32 v69, v90, v83
	v_dual_add_f32 v72, v72, v57 :: v_dual_add_f32 v57, v62, v80
	v_mul_f32_e32 v96, 0xbf763a35, v24
	s_delay_alu instid0(VALU_DEP_3)
	v_dual_add_f32 v80, v12, v67 :: v_dual_add_f32 v67, v77, v68
	v_mul_f32_e32 v68, 0x3f763a35, v60
	v_mul_f32_e32 v77, 0x3f65296c, v60
	;; [unrolled: 1-line block ×3, first 2 shown]
	v_fma_f32 v12, 0xbf7ba420, v63, -v78
	v_fmac_f32_e32 v78, 0xbf7ba420, v63
	v_fma_f32 v76, 0xbe8c1d8e, v63, -v68
	v_fmac_f32_e32 v68, 0xbe8c1d8e, v63
	;; [unrolled: 2-line block ×3, first 2 shown]
	v_add_f32_e32 v43, v43, v55
	s_delay_alu instid0(VALU_DEP_4) | instskip(SKIP_1) | instid1(VALU_DEP_4)
	v_dual_mul_f32 v55, 0xbf763a35, v42 :: v_dual_add_f32 v68, v68, v73
	v_fma_f32 v73, 0x3f6eb680, v63, -v60
	v_dual_fmac_f32 v60, 0x3f6eb680, v63 :: v_dual_add_f32 v63, v77, v74
	v_fma_f32 v74, 0x3ee437d1, v53, -v65
	v_fmac_f32_e32 v65, 0x3ee437d1, v53
	v_mul_f32_e32 v77, 0xbf4c4adb, v52
	s_delay_alu instid0(VALU_DEP_4) | instskip(SKIP_4) | instid1(VALU_DEP_4)
	v_add_f32_e32 v56, v60, v56
	v_mul_f32_e32 v60, 0x3e3c28d5, v52
	v_dual_add_f32 v62, v89, v82 :: v_dual_add_f32 v57, v74, v57
	v_add_f32_e32 v61, v65, v61
	v_fma_f32 v74, 0xbf1a4643, v53, -v77
	v_fma_f32 v65, 0xbf7ba420, v53, -v60
	v_fmac_f32_e32 v60, 0xbf7ba420, v53
	v_fmac_f32_e32 v77, 0xbf1a4643, v53
	s_delay_alu instid0(VALU_DEP_4) | instskip(NEXT) | instid1(VALU_DEP_3)
	v_dual_add_f32 v73, v73, v88 :: v_dual_add_f32 v62, v74, v62
	v_dual_add_f32 v65, v65, v69 :: v_dual_add_f32 v60, v60, v67
	v_mul_f32_e32 v67, 0xbeb8f4ab, v52
	v_dual_add_f32 v12, v12, v84 :: v_dual_add_f32 v71, v78, v71
	v_mul_f32_e32 v78, 0x3f763a35, v52
	v_add_f32_e32 v66, v77, v66
	s_delay_alu instid0(VALU_DEP_4)
	v_fma_f32 v77, 0x3f6eb680, v53, -v67
	v_fmac_f32_e32 v67, 0x3f6eb680, v53
	v_mul_f32_e32 v98, 0x3f7ee86f, v24
	v_fma_f32 v69, 0xbe8c1d8e, v53, -v78
	v_fmac_f32_e32 v78, 0xbe8c1d8e, v53
	v_mul_f32_e32 v91, 0x3f65296c, v24
	v_add_f32_e32 v67, v67, v68
	v_fma_f32 v68, 0x3dbcf732, v51, -v59
	s_delay_alu instid0(VALU_DEP_4) | instskip(SKIP_1) | instid1(VALU_DEP_3)
	v_dual_add_f32 v12, v69, v12 :: v_dual_add_f32 v71, v78, v71
	v_add_f32_e32 v72, v81, v72
	v_dual_mul_f32 v78, 0xbf7ee86f, v52 :: v_dual_add_f32 v57, v68, v57
	v_mul_f32_e32 v74, 0x3f2c7751, v52
	v_mul_f32_e32 v52, 0xbf06c442, v52
	;; [unrolled: 1-line block ×3, first 2 shown]
	v_fmac_f32_e32 v59, 0x3dbcf732, v51
	s_barrier_signal -1
	v_fma_f32 v69, 0x3f3d2fb0, v53, -v74
	v_fmac_f32_e32 v74, 0x3f3d2fb0, v53
	s_barrier_wait -1
	v_add_f32_e32 v59, v59, v61
	v_add_f32_e32 v37, v37, v49
	s_delay_alu instid0(VALU_DEP_3)
	v_dual_add_f32 v69, v69, v75 :: v_dual_add_f32 v72, v74, v72
	v_add_f32_e32 v64, v64, v87
	v_fma_f32 v75, 0x3dbcf732, v53, -v78
	v_fmac_f32_e32 v78, 0x3dbcf732, v53
	v_mul_f32_e32 v49, 0xbf4c4adb, v36
	global_inv scope:SCOPE_SE
	v_dual_mul_f32 v41, 0xbf06c442, v22 :: v_dual_add_f32 v58, v75, v64
	v_fma_f32 v64, 0xbf59a7d5, v53, -v52
	v_dual_fmac_f32 v52, 0xbf59a7d5, v53 :: v_dual_add_f32 v63, v78, v63
	v_add_f32_e32 v25, v33, v25
	v_mul_f32_e32 v33, 0xbe3c28d5, v24
	s_delay_alu instid0(VALU_DEP_4) | instskip(NEXT) | instid1(VALU_DEP_3)
	v_dual_add_f32 v53, v64, v73 :: v_dual_mul_f32 v64, 0xbe3c28d5, v50
	v_fma_f32 v99, 0xbe8c1d8e, v25, -v96
	v_fma_f32 v100, 0x3dbcf732, v25, -v98
	v_fmac_f32_e32 v96, 0xbe8c1d8e, v25
	s_delay_alu instid0(VALU_DEP_4) | instskip(SKIP_2) | instid1(VALU_DEP_2)
	v_fma_f32 v73, 0xbf7ba420, v51, -v64
	v_fmac_f32_e32 v64, 0xbf7ba420, v51
	v_fmac_f32_e32 v98, 0x3dbcf732, v25
	v_add_f32_e32 v64, v64, v66
	v_fma_f32 v66, 0x3f6eb680, v51, -v68
	v_fmac_f32_e32 v68, 0x3f6eb680, v51
	s_delay_alu instid0(VALU_DEP_2) | instskip(NEXT) | instid1(VALU_DEP_2)
	v_add_f32_e32 v12, v66, v12
	v_dual_add_f32 v66, v68, v71 :: v_dual_mul_f32 v71, 0x3f4c4adb, v50
	v_add_f32_e32 v52, v52, v56
	v_mul_f32_e32 v56, 0x3f763a35, v50
	s_delay_alu instid0(VALU_DEP_3) | instskip(SKIP_1) | instid1(VALU_DEP_3)
	v_fma_f32 v54, 0xbf1a4643, v51, -v71
	v_fmac_f32_e32 v71, 0xbf1a4643, v51
	v_fma_f32 v61, 0xbe8c1d8e, v51, -v56
	v_fmac_f32_e32 v56, 0xbe8c1d8e, v51
	v_add_f32_e32 v76, v76, v86
	v_add_f32_e32 v54, v54, v58
	v_fma_f32 v58, 0xbe8c1d8e, v43, -v55
	s_delay_alu instid0(VALU_DEP_4) | instskip(SKIP_4) | instid1(VALU_DEP_4)
	v_dual_add_f32 v61, v61, v65 :: v_dual_add_f32 v56, v56, v60
	v_mul_f32_e32 v60, 0xbf06c442, v50
	v_mul_f32_e32 v65, 0xbf65296c, v50
	;; [unrolled: 1-line block ×3, first 2 shown]
	v_dual_fmac_f32 v55, 0xbe8c1d8e, v43 :: v_dual_add_f32 v74, v77, v76
	v_fma_f32 v68, 0xbf59a7d5, v51, -v60
	v_fmac_f32_e32 v60, 0xbf59a7d5, v51
	v_add_f32_e32 v62, v73, v62
	v_fma_f32 v73, 0x3ee437d1, v51, -v65
	v_fmac_f32_e32 v65, 0x3ee437d1, v51
	v_add_f32_e32 v55, v55, v59
	v_add_f32_e32 v60, v60, v67
	v_fma_f32 v67, 0x3f3d2fb0, v51, -v50
	v_fmac_f32_e32 v50, 0x3f3d2fb0, v51
	v_add_f32_e32 v51, v71, v63
	v_mul_f32_e32 v63, 0x3f06c442, v42
	v_add_f32_e32 v57, v58, v57
	s_delay_alu instid0(VALU_DEP_4)
	v_dual_add_f32 v53, v67, v53 :: v_dual_add_f32 v50, v50, v52
	v_mul_f32_e32 v52, 0x3f2c7751, v42
	v_mul_f32_e32 v67, 0xbf65296c, v42
	v_fma_f32 v58, 0xbf59a7d5, v43, -v63
	v_fmac_f32_e32 v63, 0xbf59a7d5, v43
	v_add_f32_e32 v65, v65, v72
	v_fma_f32 v59, 0x3f3d2fb0, v43, -v52
	v_fmac_f32_e32 v52, 0x3f3d2fb0, v43
	v_add_f32_e32 v58, v58, v62
	v_dual_add_f32 v62, v63, v64 :: v_dual_mul_f32 v63, 0xbe3c28d5, v42
	s_delay_alu instid0(VALU_DEP_4) | instskip(SKIP_3) | instid1(VALU_DEP_3)
	v_add_f32_e32 v59, v59, v61
	v_fma_f32 v61, 0x3ee437d1, v43, -v67
	v_dual_fmac_f32 v67, 0x3ee437d1, v43 :: v_dual_add_f32 v68, v68, v74
	v_add_f32_e32 v69, v73, v69
	v_add_f32_e32 v12, v61, v12
	s_delay_alu instid0(VALU_DEP_3)
	v_add_f32_e32 v64, v67, v66
	v_dual_mul_f32 v67, 0xbeb8f4ab, v42 :: v_dual_add_f32 v52, v52, v56
	v_mul_f32_e32 v56, 0x3f7ee86f, v42
	v_fma_f32 v61, 0xbf7ba420, v43, -v63
	v_fmac_f32_e32 v63, 0xbf7ba420, v43
	v_mul_f32_e32 v42, 0xbf4c4adb, v42
	s_delay_alu instid0(VALU_DEP_4) | instskip(NEXT) | instid1(VALU_DEP_3)
	v_fma_f32 v66, 0x3dbcf732, v43, -v56
	v_dual_fmac_f32 v56, 0x3dbcf732, v43 :: v_dual_add_f32 v63, v63, v65
	v_add_f32_e32 v61, v61, v69
	s_delay_alu instid0(VALU_DEP_3) | instskip(SKIP_1) | instid1(VALU_DEP_4)
	v_add_f32_e32 v65, v66, v68
	v_fma_f32 v66, 0x3f6eb680, v43, -v67
	v_dual_fmac_f32 v67, 0x3f6eb680, v43 :: v_dual_add_f32 v56, v56, v60
	s_delay_alu instid0(VALU_DEP_2) | instskip(SKIP_2) | instid1(VALU_DEP_4)
	v_add_f32_e32 v48, v66, v54
	v_fma_f32 v54, 0xbf1a4643, v43, -v42
	v_fmac_f32_e32 v42, 0xbf1a4643, v43
	v_add_f32_e32 v51, v67, v51
	s_delay_alu instid0(VALU_DEP_3) | instskip(SKIP_1) | instid1(VALU_DEP_4)
	v_add_f32_e32 v43, v54, v53
	v_fma_f32 v54, 0xbf1a4643, v37, -v49
	v_dual_fmac_f32 v49, 0xbf1a4643, v37 :: v_dual_add_f32 v42, v42, v50
	v_mul_f32_e32 v50, 0xbeb8f4ab, v36
	s_delay_alu instid0(VALU_DEP_3) | instskip(NEXT) | instid1(VALU_DEP_3)
	v_dual_mul_f32 v53, 0x3f763a35, v36 :: v_dual_add_f32 v54, v54, v57
	v_add_f32_e32 v49, v49, v55
	s_delay_alu instid0(VALU_DEP_3) | instskip(NEXT) | instid1(VALU_DEP_3)
	v_fma_f32 v55, 0x3f6eb680, v37, -v50
	v_fma_f32 v60, 0xbe8c1d8e, v37, -v53
	v_fmac_f32_e32 v53, 0xbe8c1d8e, v37
	s_delay_alu instid0(VALU_DEP_3) | instskip(SKIP_1) | instid1(VALU_DEP_3)
	v_add_f32_e32 v55, v55, v59
	v_mul_f32_e32 v59, 0x3f7ee86f, v36
	v_add_f32_e32 v53, v53, v62
	s_delay_alu instid0(VALU_DEP_2) | instskip(SKIP_1) | instid1(VALU_DEP_2)
	v_fma_f32 v62, 0x3dbcf732, v37, -v59
	v_fmac_f32_e32 v59, 0x3dbcf732, v37
	v_dual_add_f32 v61, v62, v61 :: v_dual_mul_f32 v62, 0xbe3c28d5, v36
	s_delay_alu instid0(VALU_DEP_2) | instskip(NEXT) | instid1(VALU_DEP_2)
	v_add_f32_e32 v59, v59, v63
	v_fma_f32 v40, 0xbf7ba420, v37, -v62
	v_fmac_f32_e32 v62, 0xbf7ba420, v37
	s_delay_alu instid0(VALU_DEP_2) | instskip(SKIP_3) | instid1(VALU_DEP_3)
	v_add_f32_e32 v40, v40, v48
	v_fma_f32 v48, 0xbf59a7d5, v23, -v41
	v_fmac_f32_e32 v41, 0xbf59a7d5, v23
	v_dual_add_f32 v57, v60, v58 :: v_dual_mul_f32 v58, 0xbf06c442, v36
	v_add_f32_e32 v48, v54, v48
	v_fmac_f32_e32 v50, 0x3f6eb680, v37
	s_delay_alu instid0(VALU_DEP_4) | instskip(NEXT) | instid1(VALU_DEP_4)
	v_add_f32_e32 v41, v49, v41
	v_fma_f32 v60, 0xbf59a7d5, v37, -v58
	v_fmac_f32_e32 v58, 0xbf59a7d5, v37
	s_delay_alu instid0(VALU_DEP_4) | instskip(SKIP_1) | instid1(VALU_DEP_4)
	v_add_f32_e32 v50, v50, v52
	v_mul_f32_e32 v52, 0xbf2c7751, v36
	v_add_f32_e32 v12, v60, v12
	v_mul_f32_e32 v36, 0x3f65296c, v36
	s_delay_alu instid0(VALU_DEP_3) | instskip(SKIP_1) | instid1(VALU_DEP_2)
	v_fma_f32 v60, 0x3f3d2fb0, v37, -v52
	v_fmac_f32_e32 v52, 0x3f3d2fb0, v37
	v_add_f32_e32 v60, v60, v65
	s_delay_alu instid0(VALU_DEP_2) | instskip(SKIP_3) | instid1(VALU_DEP_3)
	v_add_f32_e32 v52, v52, v56
	v_fma_f32 v56, 0x3ee437d1, v37, -v36
	v_dual_fmac_f32 v36, 0x3ee437d1, v37 :: v_dual_add_f32 v37, v62, v51
	v_mul_f32_e32 v51, 0x3f65296c, v22
	v_add_f32_e32 v43, v56, v43
	s_delay_alu instid0(VALU_DEP_3) | instskip(SKIP_1) | instid1(VALU_DEP_4)
	v_add_f32_e32 v36, v36, v42
	v_mul_f32_e32 v42, 0xbf7ee86f, v22
	v_fma_f32 v54, 0x3ee437d1, v23, -v51
	v_fmac_f32_e32 v51, 0x3ee437d1, v23
	v_mul_f32_e32 v56, 0x3f4c4adb, v22
	s_delay_alu instid0(VALU_DEP_4) | instskip(SKIP_1) | instid1(VALU_DEP_4)
	v_fma_f32 v49, 0x3dbcf732, v23, -v42
	v_fmac_f32_e32 v42, 0x3dbcf732, v23
	v_add_f32_e32 v51, v53, v51
	s_delay_alu instid0(VALU_DEP_4) | instskip(NEXT) | instid1(VALU_DEP_4)
	v_fma_f32 v53, 0xbf1a4643, v23, -v56
	v_dual_fmac_f32 v56, 0xbf1a4643, v23 :: v_dual_add_f32 v49, v55, v49
	v_mul_f32_e32 v55, 0xbeb8f4ab, v22
	v_add_f32_e32 v42, v50, v42
	s_delay_alu instid0(VALU_DEP_4) | instskip(SKIP_4) | instid1(VALU_DEP_4)
	v_add_f32_e32 v12, v12, v53
	v_mul_f32_e32 v50, 0xbe3c28d5, v22
	v_add_f32_e32 v54, v57, v54
	v_fma_f32 v53, 0x3f6eb680, v23, -v55
	v_dual_fmac_f32 v55, 0x3f6eb680, v23 :: v_dual_add_f32 v58, v58, v64
	v_fma_f32 v57, 0xbf7ba420, v23, -v50
	s_delay_alu instid0(VALU_DEP_3) | instskip(NEXT) | instid1(VALU_DEP_3)
	v_dual_fmac_f32 v50, 0xbf7ba420, v23 :: v_dual_add_f32 v53, v61, v53
	v_dual_add_f32 v55, v59, v55 :: v_dual_add_f32 v56, v58, v56
	v_mul_f32_e32 v58, 0x3f2c7751, v22
	v_mul_f32_e32 v22, 0xbf763a35, v22
	s_delay_alu instid0(VALU_DEP_2) | instskip(NEXT) | instid1(VALU_DEP_2)
	v_fma_f32 v59, 0x3f3d2fb0, v23, -v58
	v_fma_f32 v32, 0xbe8c1d8e, v23, -v22
	v_fmac_f32_e32 v22, 0xbe8c1d8e, v23
	v_fmac_f32_e32 v58, 0x3f3d2fb0, v23
	v_mul_f32_e32 v23, 0x3eb8f4ab, v24
	s_delay_alu instid0(VALU_DEP_4) | instskip(SKIP_4) | instid1(VALU_DEP_3)
	v_add_f32_e32 v83, v43, v32
	v_fma_f32 v32, 0xbf7ba420, v25, -v33
	v_dual_fmac_f32 v33, 0xbf7ba420, v25 :: v_dual_add_f32 v84, v36, v22
	v_mul_f32_e32 v22, 0xbf06c442, v24
	v_fma_f32 v36, 0x3f6eb680, v25, -v23
	v_dual_add_f32 v85, v48, v32 :: v_dual_add_f32 v86, v41, v33
	v_mul_f32_e32 v33, 0x3f2c7751, v24
	s_delay_alu instid0(VALU_DEP_4) | instskip(SKIP_3) | instid1(VALU_DEP_3)
	v_fma_f32 v32, 0xbf59a7d5, v25, -v22
	v_fmac_f32_e32 v22, 0xbf59a7d5, v25
	v_add_f32_e32 v57, v60, v57
	v_dual_fmac_f32 v23, 0x3f6eb680, v25 :: v_dual_add_f32 v82, v37, v58
	v_dual_add_f32 v89, v49, v32 :: v_dual_add_f32 v90, v42, v22
	v_fma_f32 v22, 0x3f3d2fb0, v25, -v33
	s_delay_alu instid0(VALU_DEP_3) | instskip(SKIP_1) | instid1(VALU_DEP_3)
	v_dual_add_f32 v88, v51, v23 :: v_dual_mul_f32 v23, 0xbf4c4adb, v24
	v_fmac_f32_e32 v33, 0x3f3d2fb0, v25
	v_dual_add_f32 v83, v83, v100 :: v_dual_add_f32 v92, v12, v22
	v_fma_f32 v12, 0x3ee437d1, v25, -v91
	s_delay_alu instid0(VALU_DEP_4)
	v_fma_f32 v32, 0xbf1a4643, v25, -v23
	v_fmac_f32_e32 v23, 0xbf1a4643, v25
	v_add_f32_e32 v93, v56, v33
	v_fmac_f32_e32 v91, 0x3ee437d1, v25
	v_dual_add_f32 v97, v57, v12 :: v_dual_lshlrev_b32 v12, 6, v70
	v_add_f32_e32 v68, v52, v50
	v_dual_add_f32 v94, v53, v32 :: v_dual_add_f32 v95, v55, v23
	v_add_f32_e32 v84, v84, v98
	s_delay_alu instid0(VALU_DEP_4) | instskip(NEXT) | instid1(VALU_DEP_4)
	v_sub_nc_u32_e32 v69, v79, v12
	v_dual_add_f32 v91, v68, v91 :: v_dual_add_nc_u32 v68, 51, v70
	v_add_f32_e32 v82, v82, v96
	s_delay_alu instid0(VALU_DEP_3)
	v_add_nc_u32_e32 v72, 0x800, v69
	v_add_nc_u32_e32 v77, 0x1400, v69
	;; [unrolled: 1-line block ×7, first 2 shown]
	v_dual_add_f32 v81, v40, v59 :: v_dual_add_nc_u32 v76, 0xe00, v69
	v_add_f32_e32 v87, v54, v36
	ds_load_2addr_b32 v[42:43], v69 offset1:51
	ds_load_2addr_b32 v[22:23], v71 offset0:126 offset1:177
	ds_load_2addr_b32 v[66:67], v75 offset0:98 offset1:149
	;; [unrolled: 1-line block ×15, first 2 shown]
	ds_load_b32 v12, v69 offset:6528
	v_add_f32_e32 v81, v81, v99
	global_wb scope:SCOPE_SE
	s_wait_dscnt 0x0
	s_barrier_signal -1
	s_barrier_wait -1
	global_inv scope:SCOPE_SE
	ds_store_2addr_b32 v79, v80, v85 offset1:1
	ds_store_2addr_b32 v79, v87, v89 offset0:2 offset1:3
	ds_store_2addr_b32 v79, v92, v94 offset0:4 offset1:5
	;; [unrolled: 1-line block ×7, first 2 shown]
	ds_store_b32 v79, v86 offset:64
	s_and_saveexec_b32 s1, s0
	s_cbranch_execz .LBB0_17
; %bb.16:
	v_dual_add_f32 v79, v13, v35 :: v_dual_sub_f32 v34, v34, v44
	v_add_f32_e32 v44, v27, v47
	v_dual_add_f32 v35, v35, v45 :: v_dual_sub_f32 v26, v26, v46
	s_delay_alu instid0(VALU_DEP_3) | instskip(SKIP_2) | instid1(VALU_DEP_3)
	v_dual_add_f32 v27, v79, v27 :: v_dual_mul_f32 v46, 0xbeb8f4ab, v34
	v_mul_f32_e32 v80, 0xbf65296c, v34
	v_mul_f32_e32 v79, 0xbf2c7751, v34
	v_dual_sub_f32 v18, v18, v38 :: v_dual_add_f32 v27, v27, v19
	v_mul_f32_e32 v82, 0xbf763a35, v34
	s_delay_alu instid0(VALU_DEP_4) | instskip(SKIP_4) | instid1(VALU_DEP_4)
	v_fma_f32 v91, 0x3ee437d1, v35, -v80
	v_fmac_f32_e32 v80, 0x3ee437d1, v35
	v_mul_f32_e32 v81, 0xbf7ee86f, v34
	v_dual_add_f32 v27, v27, v17 :: v_dual_mul_f32 v84, 0xbf06c442, v34
	v_fma_f32 v89, 0x3f6eb680, v35, -v46
	v_add_f32_e32 v80, v13, v80
	s_delay_alu instid0(VALU_DEP_4) | instskip(NEXT) | instid1(VALU_DEP_4)
	v_fma_f32 v92, 0x3dbcf732, v35, -v81
	v_add_f32_e32 v27, v27, v11
	v_mul_f32_e32 v83, 0xbf4c4adb, v34
	v_mul_f32_e32 v34, 0xbe3c28d5, v34
	v_fma_f32 v93, 0xbe8c1d8e, v35, -v82
	s_delay_alu instid0(VALU_DEP_4)
	v_dual_add_f32 v92, v13, v92 :: v_dual_add_f32 v27, v27, v7
	v_mul_f32_e32 v86, 0xbf7ee86f, v26
	v_fma_f32 v94, 0xbf1a4643, v35, -v83
	v_fma_f32 v96, 0xbf7ba420, v35, -v34
	v_mul_f32_e32 v87, 0xbf4c4adb, v26
	v_dual_add_f32 v27, v27, v1 :: v_dual_mul_f32 v88, 0xbe3c28d5, v26
	v_dual_fmac_f32 v34, 0xbf7ba420, v35 :: v_dual_add_f32 v93, v13, v93
	v_fmac_f32_e32 v81, 0x3dbcf732, v35
	s_delay_alu instid0(VALU_DEP_3)
	v_add_f32_e32 v27, v27, v3
	v_fmac_f32_e32 v46, 0x3f6eb680, v35
	v_add_f32_e32 v94, v13, v94
	v_add_f32_e32 v96, v13, v96
	v_fma_f32 v98, 0xbf1a4643, v44, -v87
	v_add_f32_e32 v27, v27, v5
	v_fmac_f32_e32 v87, 0xbf1a4643, v44
	v_fma_f32 v95, 0xbf59a7d5, v35, -v84
	v_fma_f32 v97, 0x3dbcf732, v44, -v86
	s_delay_alu instid0(VALU_DEP_4) | instskip(SKIP_3) | instid1(VALU_DEP_4)
	v_dual_fmac_f32 v86, 0x3dbcf732, v44 :: v_dual_add_f32 v27, v27, v9
	v_dual_fmac_f32 v84, 0xbf59a7d5, v35 :: v_dual_add_f32 v81, v13, v81
	v_mul_f32_e32 v85, 0xbf2c7751, v26
	v_fma_f32 v90, 0x3f3d2fb0, v35, -v79
	v_dual_add_f32 v27, v27, v15 :: v_dual_add_f32 v34, v13, v34
	v_dual_fmac_f32 v79, 0x3f3d2fb0, v35 :: v_dual_add_f32 v46, v13, v46
	v_dual_fmac_f32 v82, 0xbe8c1d8e, v35 :: v_dual_add_f32 v89, v13, v89
	s_delay_alu instid0(VALU_DEP_3) | instskip(SKIP_3) | instid1(VALU_DEP_4)
	v_add_f32_e32 v27, v21, v27
	v_dual_fmac_f32 v83, 0xbf1a4643, v35 :: v_dual_add_f32 v90, v13, v90
	v_add_f32_e32 v84, v13, v84
	v_fma_f32 v35, 0x3f3d2fb0, v44, -v85
	v_add_f32_e32 v27, v31, v27
	v_dual_fmac_f32 v85, 0x3f3d2fb0, v44 :: v_dual_add_f32 v82, v13, v82
	v_fma_f32 v99, 0xbf7ba420, v44, -v88
	v_add_f32_e32 v79, v13, v79
	s_delay_alu instid0(VALU_DEP_4) | instskip(SKIP_3) | instid1(VALU_DEP_4)
	v_add_f32_e32 v27, v39, v27
	v_dual_add_f32 v91, v13, v91 :: v_dual_fmac_f32 v88, 0xbf7ba420, v44
	v_add_f32_e32 v83, v13, v83
	v_add_f32_e32 v95, v13, v95
	;; [unrolled: 1-line block ×3, first 2 shown]
	v_dual_add_f32 v27, v46, v85 :: v_dual_add_f32 v80, v80, v87
	v_mul_f32_e32 v85, 0x3f763a35, v26
	v_add_f32_e32 v81, v81, v88
	v_add_f32_e32 v19, v19, v39
	;; [unrolled: 1-line block ×4, first 2 shown]
	v_fma_f32 v88, 0xbe8c1d8e, v44, -v85
	v_fmac_f32_e32 v85, 0xbe8c1d8e, v44
	v_mul_f32_e32 v89, 0x3f65296c, v26
	v_dual_mul_f32 v39, 0xbf65296c, v18 :: v_dual_add_f32 v46, v90, v97
	v_dual_add_f32 v47, v79, v86 :: v_dual_add_f32 v86, v92, v99
	s_delay_alu instid0(VALU_DEP_4) | instskip(SKIP_3) | instid1(VALU_DEP_3)
	v_add_f32_e32 v83, v83, v85
	v_mul_f32_e32 v45, 0x3f06c442, v26
	v_dual_mul_f32 v26, 0x3eb8f4ab, v26 :: v_dual_add_f32 v17, v17, v31
	v_dual_sub_f32 v10, v10, v20 :: v_dual_add_f32 v11, v11, v21
	v_fma_f32 v87, 0xbf59a7d5, v44, -v45
	v_fmac_f32_e32 v45, 0xbf59a7d5, v44
	s_delay_alu instid0(VALU_DEP_4) | instskip(SKIP_1) | instid1(VALU_DEP_4)
	v_fma_f32 v85, 0x3f6eb680, v44, -v26
	v_fmac_f32_e32 v26, 0x3f6eb680, v44
	v_dual_sub_f32 v16, v16, v30 :: v_dual_add_f32 v87, v93, v87
	v_dual_sub_f32 v6, v6, v14 :: v_dual_add_f32 v7, v7, v15
	s_delay_alu instid0(VALU_DEP_3)
	v_add_f32_e32 v26, v34, v26
	v_dual_mul_f32 v34, 0x3e3c28d5, v18 :: v_dual_add_f32 v45, v82, v45
	v_add_f32_e32 v82, v94, v88
	v_fma_f32 v88, 0x3ee437d1, v44, -v89
	v_dual_fmac_f32 v89, 0x3ee437d1, v44 :: v_dual_add_f32 v44, v96, v85
	v_mul_f32_e32 v85, 0xbf4c4adb, v18
	v_mul_f32_e32 v31, 0xbf7ee86f, v16
	v_sub_f32_e32 v0, v0, v8
	s_delay_alu instid0(VALU_DEP_4)
	v_add_f32_e32 v84, v84, v89
	v_add_f32_e32 v38, v95, v88
	v_fma_f32 v88, 0x3ee437d1, v19, -v39
	v_fmac_f32_e32 v39, 0x3ee437d1, v19
	v_fma_f32 v89, 0xbf1a4643, v19, -v85
	v_add_f32_e32 v79, v91, v98
	v_dual_add_f32 v1, v1, v9 :: v_dual_sub_f32 v2, v2, v4
	s_delay_alu instid0(VALU_DEP_4) | instskip(SKIP_3) | instid1(VALU_DEP_3)
	v_add_f32_e32 v27, v27, v39
	v_fma_f32 v39, 0xbf7ba420, v19, -v34
	v_add_f32_e32 v46, v46, v89
	v_dual_fmac_f32 v34, 0xbf7ba420, v19 :: v_dual_add_f32 v3, v3, v5
	v_add_f32_e32 v39, v79, v39
	v_mul_f32_e32 v79, 0x3f2c7751, v18
	s_delay_alu instid0(VALU_DEP_3) | instskip(SKIP_2) | instid1(VALU_DEP_4)
	v_add_f32_e32 v34, v80, v34
	v_dual_mul_f32 v80, 0xbeb8f4ab, v18 :: v_dual_add_f32 v35, v35, v88
	v_mul_f32_e32 v88, 0x3f763a35, v18
	v_fma_f32 v89, 0x3f3d2fb0, v19, -v79
	v_fmac_f32_e32 v79, 0x3f3d2fb0, v19
	s_delay_alu instid0(VALU_DEP_2) | instskip(NEXT) | instid1(VALU_DEP_2)
	v_add_f32_e32 v87, v87, v89
	v_add_f32_e32 v45, v45, v79
	v_mul_f32_e32 v79, 0xbf7ee86f, v18
	v_mul_f32_e32 v18, 0xbf06c442, v18
	v_fmac_f32_e32 v85, 0xbf1a4643, v19
	s_delay_alu instid0(VALU_DEP_3) | instskip(NEXT) | instid1(VALU_DEP_2)
	v_fma_f32 v30, 0x3dbcf732, v19, -v79
	v_add_f32_e32 v47, v47, v85
	v_fma_f32 v85, 0xbe8c1d8e, v19, -v88
	v_fmac_f32_e32 v88, 0xbe8c1d8e, v19
	s_delay_alu instid0(VALU_DEP_4) | instskip(NEXT) | instid1(VALU_DEP_3)
	v_add_f32_e32 v30, v38, v30
	v_add_f32_e32 v85, v86, v85
	v_fma_f32 v86, 0x3f6eb680, v19, -v80
	v_fmac_f32_e32 v80, 0x3f6eb680, v19
	s_delay_alu instid0(VALU_DEP_2) | instskip(NEXT) | instid1(VALU_DEP_2)
	v_add_f32_e32 v82, v82, v86
	v_add_f32_e32 v80, v83, v80
	v_fma_f32 v83, 0xbf59a7d5, v19, -v18
	v_fmac_f32_e32 v18, 0xbf59a7d5, v19
	s_delay_alu instid0(VALU_DEP_2) | instskip(SKIP_1) | instid1(VALU_DEP_3)
	v_add_f32_e32 v38, v44, v83
	v_fma_f32 v44, 0x3dbcf732, v17, -v31
	v_dual_add_f32 v18, v26, v18 :: v_dual_fmac_f32 v31, 0x3dbcf732, v17
	v_mul_f32_e32 v26, 0x3f763a35, v16
	v_add_f32_e32 v81, v81, v88
	v_mul_f32_e32 v83, 0x3eb8f4ab, v16
	v_add_f32_e32 v35, v35, v44
	v_add_f32_e32 v27, v27, v31
	v_fma_f32 v31, 0xbe8c1d8e, v17, -v26
	s_delay_alu instid0(VALU_DEP_1) | instskip(SKIP_1) | instid1(VALU_DEP_2)
	v_dual_fmac_f32 v26, 0xbe8c1d8e, v17 :: v_dual_add_f32 v31, v39, v31
	v_fma_f32 v39, 0x3f6eb680, v17, -v83
	v_dual_fmac_f32 v83, 0x3f6eb680, v17 :: v_dual_add_f32 v26, v34, v26
	s_delay_alu instid0(VALU_DEP_2) | instskip(NEXT) | instid1(VALU_DEP_2)
	v_dual_mul_f32 v34, 0xbf06c442, v16 :: v_dual_add_f32 v39, v85, v39
	v_add_f32_e32 v81, v81, v83
	s_delay_alu instid0(VALU_DEP_2) | instskip(SKIP_1) | instid1(VALU_DEP_1)
	v_fma_f32 v83, 0xbf59a7d5, v17, -v34
	v_fmac_f32_e32 v34, 0xbf59a7d5, v17
	v_dual_fmac_f32 v79, 0x3dbcf732, v19 :: v_dual_add_f32 v34, v80, v34
	s_delay_alu instid0(VALU_DEP_1) | instskip(SKIP_2) | instid1(VALU_DEP_2)
	v_add_f32_e32 v19, v84, v79
	v_mul_f32_e32 v79, 0xbe3c28d5, v16
	v_mul_f32_e32 v84, 0x3f4c4adb, v16
	v_fma_f32 v44, 0xbf7ba420, v17, -v79
	s_delay_alu instid0(VALU_DEP_1) | instskip(NEXT) | instid1(VALU_DEP_1)
	v_dual_fmac_f32 v79, 0xbf7ba420, v17 :: v_dual_add_f32 v44, v46, v44
	v_dual_add_f32 v46, v47, v79 :: v_dual_mul_f32 v47, 0xbf65296c, v16
	v_mul_f32_e32 v16, 0x3f2c7751, v16
	s_delay_alu instid0(VALU_DEP_2) | instskip(SKIP_1) | instid1(VALU_DEP_2)
	v_fma_f32 v79, 0x3ee437d1, v17, -v47
	v_fmac_f32_e32 v47, 0x3ee437d1, v17
	v_add_f32_e32 v79, v87, v79
	s_delay_alu instid0(VALU_DEP_2) | instskip(SKIP_2) | instid1(VALU_DEP_1)
	v_add_f32_e32 v45, v45, v47
	v_add_f32_e32 v47, v82, v83
	v_fma_f32 v82, 0xbf1a4643, v17, -v84
	v_add_f32_e32 v20, v30, v82
	v_fma_f32 v30, 0x3f3d2fb0, v17, -v16
	v_fmac_f32_e32 v16, 0x3f3d2fb0, v17
	v_fmac_f32_e32 v84, 0xbf1a4643, v17
	s_delay_alu instid0(VALU_DEP_2) | instskip(SKIP_2) | instid1(VALU_DEP_4)
	v_add_f32_e32 v16, v18, v16
	v_mul_f32_e32 v18, 0x3f2c7751, v10
	v_add_f32_e32 v17, v38, v30
	v_dual_mul_f32 v30, 0x3f06c442, v10 :: v_dual_add_f32 v19, v19, v84
	s_delay_alu instid0(VALU_DEP_1) | instskip(SKIP_1) | instid1(VALU_DEP_1)
	v_fma_f32 v80, 0xbf59a7d5, v11, -v30
	v_fmac_f32_e32 v30, 0xbf59a7d5, v11
	v_add_f32_e32 v30, v46, v30
	v_mul_f32_e32 v21, 0xbf763a35, v10
	s_delay_alu instid0(VALU_DEP_1) | instskip(NEXT) | instid1(VALU_DEP_1)
	v_fma_f32 v38, 0xbe8c1d8e, v11, -v21
	v_dual_add_f32 v35, v35, v38 :: v_dual_add_f32 v38, v44, v80
	v_fmac_f32_e32 v21, 0xbe8c1d8e, v11
	s_delay_alu instid0(VALU_DEP_1) | instskip(SKIP_2) | instid1(VALU_DEP_3)
	v_dual_mul_f32 v44, 0xbf65296c, v10 :: v_dual_add_f32 v21, v27, v21
	v_fma_f32 v27, 0x3f3d2fb0, v11, -v18
	v_fmac_f32_e32 v18, 0x3f3d2fb0, v11
	v_fma_f32 v46, 0x3ee437d1, v11, -v44
	s_delay_alu instid0(VALU_DEP_2) | instskip(SKIP_2) | instid1(VALU_DEP_4)
	v_dual_add_f32 v27, v31, v27 :: v_dual_add_f32 v18, v26, v18
	v_mul_f32_e32 v31, 0xbe3c28d5, v10
	v_mul_f32_e32 v26, 0x3f7ee86f, v10
	v_add_f32_e32 v39, v39, v46
	s_delay_alu instid0(VALU_DEP_3) | instskip(NEXT) | instid1(VALU_DEP_3)
	v_fma_f32 v80, 0xbf7ba420, v11, -v31
	v_fma_f32 v46, 0x3dbcf732, v11, -v26
	s_delay_alu instid0(VALU_DEP_2) | instskip(NEXT) | instid1(VALU_DEP_1)
	v_dual_fmac_f32 v26, 0x3dbcf732, v11 :: v_dual_add_f32 v79, v79, v80
	v_dual_fmac_f32 v31, 0xbf7ba420, v11 :: v_dual_add_f32 v26, v34, v26
	s_delay_alu instid0(VALU_DEP_1) | instskip(SKIP_2) | instid1(VALU_DEP_1)
	v_add_f32_e32 v31, v45, v31
	v_mul_f32_e32 v45, 0xbeb8f4ab, v10
	v_mul_f32_e32 v10, 0xbf4c4adb, v10
	v_fma_f32 v34, 0xbf1a4643, v11, -v10
	v_fmac_f32_e32 v10, 0xbf1a4643, v11
	s_delay_alu instid0(VALU_DEP_1)
	v_add_f32_e32 v10, v16, v10
	v_fma_f32 v14, 0x3f6eb680, v11, -v45
	v_fmac_f32_e32 v44, 0x3ee437d1, v11
	v_fmac_f32_e32 v45, 0x3f6eb680, v11
	v_add_f32_e32 v11, v17, v34
	v_mul_f32_e32 v16, 0xbeb8f4ab, v6
	v_add_f32_e32 v14, v20, v14
	v_mul_f32_e32 v15, 0xbf4c4adb, v6
	v_mul_f32_e32 v20, 0x3f763a35, v6
	v_add_f32_e32 v46, v47, v46
	v_add_f32_e32 v44, v81, v44
	s_delay_alu instid0(VALU_DEP_4) | instskip(SKIP_1) | instid1(VALU_DEP_2)
	v_fma_f32 v17, 0xbf1a4643, v7, -v15
	v_fmac_f32_e32 v15, 0xbf1a4643, v7
	v_add_f32_e32 v17, v35, v17
	s_delay_alu instid0(VALU_DEP_2) | instskip(SKIP_2) | instid1(VALU_DEP_1)
	v_add_f32_e32 v15, v21, v15
	v_fma_f32 v21, 0x3f6eb680, v7, -v16
	v_fmac_f32_e32 v16, 0x3f6eb680, v7
	v_add_f32_e32 v16, v18, v16
	v_mul_f32_e32 v18, 0xbf2c7751, v6
	v_fma_f32 v34, 0xbe8c1d8e, v7, -v20
	v_fmac_f32_e32 v20, 0xbe8c1d8e, v7
	s_delay_alu instid0(VALU_DEP_2) | instskip(NEXT) | instid1(VALU_DEP_2)
	v_add_f32_e32 v34, v38, v34
	v_add_f32_e32 v20, v30, v20
	v_mul_f32_e32 v30, 0x3f7ee86f, v6
	s_delay_alu instid0(VALU_DEP_1) | instskip(SKIP_1) | instid1(VALU_DEP_2)
	v_fma_f32 v38, 0x3dbcf732, v7, -v30
	v_fmac_f32_e32 v30, 0x3dbcf732, v7
	v_add_f32_e32 v38, v79, v38
	s_delay_alu instid0(VALU_DEP_2) | instskip(SKIP_3) | instid1(VALU_DEP_3)
	v_add_f32_e32 v30, v31, v30
	v_mul_f32_e32 v31, 0xbe3c28d5, v6
	v_mul_f32_e32 v9, 0xbf06c442, v0
	v_add_f32_e32 v19, v19, v45
	v_fma_f32 v8, 0xbf7ba420, v7, -v31
	s_delay_alu instid0(VALU_DEP_1) | instskip(NEXT) | instid1(VALU_DEP_4)
	v_dual_fmac_f32 v31, 0xbf7ba420, v7 :: v_dual_add_f32 v8, v14, v8
	v_fma_f32 v14, 0xbf59a7d5, v1, -v9
	v_mul_f32_e32 v35, 0xbf06c442, v6
	v_dual_mul_f32 v6, 0x3f65296c, v6 :: v_dual_add_f32 v21, v27, v21
	v_fmac_f32_e32 v9, 0xbf59a7d5, v1
	s_delay_alu instid0(VALU_DEP_3) | instskip(NEXT) | instid1(VALU_DEP_1)
	v_fma_f32 v27, 0xbf59a7d5, v7, -v35
	v_add_f32_e32 v27, v39, v27
	v_fma_f32 v39, 0x3f3d2fb0, v7, -v18
	v_fmac_f32_e32 v18, 0x3f3d2fb0, v7
	s_delay_alu instid0(VALU_DEP_1) | instskip(SKIP_2) | instid1(VALU_DEP_1)
	v_add_f32_e32 v18, v26, v18
	v_fma_f32 v26, 0x3ee437d1, v7, -v6
	v_fmac_f32_e32 v6, 0x3ee437d1, v7
	v_add_f32_e32 v6, v10, v6
	v_add_f32_e32 v10, v14, v17
	v_dual_mul_f32 v14, 0xbf7ee86f, v0 :: v_dual_add_f32 v39, v46, v39
	v_add_f32_e32 v11, v11, v26
	v_add_f32_e32 v9, v9, v15
	v_mul_f32_e32 v15, 0x3f4c4adb, v0
	s_delay_alu instid0(VALU_DEP_4) | instskip(SKIP_2) | instid1(VALU_DEP_3)
	v_fma_f32 v26, 0x3dbcf732, v1, -v14
	v_fmac_f32_e32 v14, 0x3dbcf732, v1
	v_fmac_f32_e32 v35, 0xbf59a7d5, v7
	v_dual_add_f32 v21, v26, v21 :: v_dual_mul_f32 v26, 0xbeb8f4ab, v0
	v_add_f32_e32 v7, v19, v31
	v_mul_f32_e32 v19, 0x3f65296c, v0
	s_delay_alu instid0(VALU_DEP_4) | instskip(SKIP_1) | instid1(VALU_DEP_3)
	v_dual_add_f32 v14, v14, v16 :: v_dual_add_f32 v35, v44, v35
	v_mul_f32_e32 v31, 0x3f2c7751, v0
	v_fma_f32 v17, 0x3ee437d1, v1, -v19
	v_fmac_f32_e32 v19, 0x3ee437d1, v1
	s_delay_alu instid0(VALU_DEP_1) | instskip(SKIP_1) | instid1(VALU_DEP_1)
	v_add_f32_e32 v19, v19, v20
	v_fma_f32 v20, 0xbf1a4643, v1, -v15
	v_add_f32_e32 v16, v20, v27
	v_mul_f32_e32 v20, 0xbe3c28d5, v0
	v_fma_f32 v27, 0x3f6eb680, v1, -v26
	v_fmac_f32_e32 v26, 0x3f6eb680, v1
	v_dual_mul_f32 v0, 0xbf763a35, v0 :: v_dual_add_f32 v17, v17, v34
	s_delay_alu instid0(VALU_DEP_4) | instskip(SKIP_1) | instid1(VALU_DEP_4)
	v_fma_f32 v34, 0xbf7ba420, v1, -v20
	v_fmac_f32_e32 v20, 0xbf7ba420, v1
	v_add_f32_e32 v26, v26, v30
	v_fma_f32 v30, 0x3f3d2fb0, v1, -v31
	s_delay_alu instid0(VALU_DEP_4) | instskip(NEXT) | instid1(VALU_DEP_4)
	v_add_f32_e32 v34, v34, v39
	v_add_f32_e32 v18, v20, v18
	v_mul_f32_e32 v20, 0xbf06c442, v2
	s_delay_alu instid0(VALU_DEP_4) | instskip(SKIP_3) | instid1(VALU_DEP_3)
	v_add_f32_e32 v4, v30, v8
	v_fma_f32 v8, 0xbe8c1d8e, v1, -v0
	v_fmac_f32_e32 v0, 0xbe8c1d8e, v1
	v_mul_f32_e32 v5, 0xbe3c28d5, v2
	v_dual_add_f32 v27, v27, v38 :: v_dual_add_f32 v8, v8, v11
	s_delay_alu instid0(VALU_DEP_3) | instskip(NEXT) | instid1(VALU_DEP_3)
	v_add_f32_e32 v0, v0, v6
	v_fma_f32 v11, 0xbf7ba420, v3, -v5
	v_fmac_f32_e32 v5, 0xbf7ba420, v3
	s_delay_alu instid0(VALU_DEP_2) | instskip(NEXT) | instid1(VALU_DEP_2)
	v_dual_fmac_f32 v15, 0xbf1a4643, v1 :: v_dual_add_f32 v10, v11, v10
	v_add_f32_e32 v5, v5, v9
	v_fma_f32 v9, 0xbf59a7d5, v3, -v20
	v_fmac_f32_e32 v20, 0xbf59a7d5, v3
	v_mul_f32_e32 v11, 0x3f2c7751, v2
	s_delay_alu instid0(VALU_DEP_2) | instskip(NEXT) | instid1(VALU_DEP_1)
	v_dual_add_f32 v14, v20, v14 :: v_dual_fmac_f32 v31, 0x3f3d2fb0, v1
	v_add_f32_e32 v1, v31, v7
	v_mul_f32_e32 v7, 0x3eb8f4ab, v2
	s_delay_alu instid0(VALU_DEP_1) | instskip(SKIP_1) | instid1(VALU_DEP_2)
	v_fma_f32 v6, 0x3f6eb680, v3, -v7
	v_add_f32_e32 v15, v15, v35
	v_dual_fmac_f32 v7, 0x3f6eb680, v3 :: v_dual_add_f32 v6, v6, v17
	v_mul_f32_e32 v17, 0xbf4c4adb, v2
	s_delay_alu instid0(VALU_DEP_2) | instskip(SKIP_2) | instid1(VALU_DEP_4)
	v_add_f32_e32 v7, v7, v19
	v_fma_f32 v19, 0x3f3d2fb0, v3, -v11
	v_fmac_f32_e32 v11, 0x3f3d2fb0, v3
	v_fma_f32 v20, 0xbf1a4643, v3, -v17
	s_delay_alu instid0(VALU_DEP_3) | instskip(NEXT) | instid1(VALU_DEP_3)
	v_add_f32_e32 v16, v19, v16
	v_add_f32_e32 v11, v11, v15
	s_delay_alu instid0(VALU_DEP_3) | instskip(SKIP_4) | instid1(VALU_DEP_3)
	v_dual_add_f32 v15, v20, v27 :: v_dual_mul_f32 v20, 0xbf763a35, v2
	v_add_f32_e32 v9, v9, v21
	v_mul_f32_e32 v21, 0x3f65296c, v2
	v_fmac_f32_e32 v17, 0xbf1a4643, v3
	v_mul_f32_e32 v2, 0x3f7ee86f, v2
	v_fma_f32 v19, 0x3ee437d1, v3, -v21
	v_fmac_f32_e32 v21, 0x3ee437d1, v3
	s_delay_alu instid0(VALU_DEP_4) | instskip(NEXT) | instid1(VALU_DEP_4)
	v_add_f32_e32 v17, v17, v26
	v_fma_f32 v26, 0x3dbcf732, v3, -v2
	s_delay_alu instid0(VALU_DEP_4) | instskip(NEXT) | instid1(VALU_DEP_4)
	v_dual_fmac_f32 v2, 0x3dbcf732, v3 :: v_dual_add_f32 v19, v19, v34
	v_add_f32_e32 v18, v21, v18
	v_fma_f32 v21, 0xbe8c1d8e, v3, -v20
	v_fmac_f32_e32 v20, 0xbe8c1d8e, v3
	v_mad_u32_u24 v3, 0x44, v68, 0
	v_add_f32_e32 v8, v26, v8
	v_add_f32_e32 v0, v2, v0
	s_delay_alu instid0(VALU_DEP_4)
	v_dual_add_f32 v4, v21, v4 :: v_dual_add_f32 v1, v20, v1
	ds_store_2addr_b32 v3, v13, v10 offset1:1
	ds_store_2addr_b32 v3, v6, v9 offset0:2 offset1:3
	ds_store_2addr_b32 v3, v16, v15 offset0:4 offset1:5
	;; [unrolled: 1-line block ×7, first 2 shown]
	ds_store_b32 v3, v5 offset:64
.LBB0_17:
	s_wait_alu 0xfffe
	s_or_b32 exec_lo, exec_lo, s1
	v_and_b32_e32 v1, 0xff, v70
	v_and_b32_e32 v0, 0xff, v68
	v_add_nc_u32_e32 v84, 0x99, v70
	global_wb scope:SCOPE_SE
	s_wait_dscnt 0x0
	s_barrier_signal -1
	v_mul_lo_u16 v1, 0xf1, v1
	v_mul_lo_u16 v0, 0xf1, v0
	s_barrier_wait -1
	global_inv scope:SCOPE_SE
	v_add_nc_u32_e32 v81, 0xcc, v70
	v_lshrrev_b16 v130, 12, v1
	v_lshrrev_b16 v27, 12, v0
	v_add_nc_u32_e32 v79, 0xff, v70
	v_add_nc_u32_e32 v85, 0x165, v70
	v_and_b32_e32 v3, 0xff, v81
	v_mul_lo_u16 v2, v130, 17
	v_mul_lo_u16 v0, v27, 17
	v_add_nc_u32_e32 v83, 0x198, v70
	v_add_nc_u32_e32 v87, 0x66, v70
	s_delay_alu instid0(VALU_DEP_4) | instskip(NEXT) | instid1(VALU_DEP_4)
	v_sub_nc_u16 v2, v70, v2
	v_sub_nc_u16 v0, v68, v0
	s_delay_alu instid0(VALU_DEP_3) | instskip(NEXT) | instid1(VALU_DEP_3)
	v_and_b32_e32 v9, 0xff, v87
	v_and_b32_e32 v133, 0xff, v2
	s_delay_alu instid0(VALU_DEP_3) | instskip(SKIP_1) | instid1(VALU_DEP_3)
	v_and_b32_e32 v131, 0xff, v0
	v_mul_lo_u16 v0, 0xf1, v3
	v_lshlrev_b32_e32 v7, 4, v133
	s_delay_alu instid0(VALU_DEP_2) | instskip(SKIP_2) | instid1(VALU_DEP_1)
	v_lshrrev_b16 v134, 12, v0
	global_load_b128 v[44:47], v7, s[4:5]
	v_and_b32_e32 v1, 0xff, v84
	v_mul_lo_u16 v1, 0xf1, v1
	s_delay_alu instid0(VALU_DEP_1) | instskip(SKIP_1) | instid1(VALU_DEP_2)
	v_lshrrev_b16 v132, 12, v1
	v_lshlrev_b32_e32 v1, 4, v131
	v_mul_lo_u16 v6, v132, 17
	global_load_b128 v[2:5], v1, s[4:5]
	v_and_b32_e32 v0, 0xffff, v79
	v_sub_nc_u16 v1, v84, v6
	v_mul_lo_u16 v6, v134, 17
	s_delay_alu instid0(VALU_DEP_3) | instskip(NEXT) | instid1(VALU_DEP_3)
	v_mul_u32_u24_e32 v0, 0xf0f1, v0
	v_and_b32_e32 v135, 0xff, v1
	s_delay_alu instid0(VALU_DEP_3) | instskip(NEXT) | instid1(VALU_DEP_3)
	v_sub_nc_u16 v1, v81, v6
	v_lshrrev_b32_e32 v10, 20, v0
	s_delay_alu instid0(VALU_DEP_3)
	v_lshlrev_b32_e32 v0, 4, v135
	global_load_b128 v[88:91], v0, s[4:5]
	v_and_b32_e32 v136, 0xff, v1
	v_mul_lo_u16 v1, v10, 17
	v_add_nc_u32_e32 v86, 0x132, v70
	v_add_nc_u32_e32 v82, 0x1cb, v70
	;; [unrolled: 1-line block ×3, first 2 shown]
	v_lshlrev_b32_e32 v0, 4, v136
	v_sub_nc_u16 v1, v79, v1
	v_mul_u32_u24_e32 v10, 0xcc, v10
	v_and_b32_e32 v7, 0xffff, v82
	global_load_b128 v[92:95], v0, s[4:5]
	v_and_b32_e32 v11, 0xffff, v1
	v_and_b32_e32 v1, 0xffff, v85
	v_mul_u32_u24_e32 v7, 0xf0f1, v7
	s_delay_alu instid0(VALU_DEP_3) | instskip(NEXT) | instid1(VALU_DEP_2)
	v_lshlrev_b32_e32 v0, 4, v11
	v_lshrrev_b32_e32 v13, 20, v7
	global_load_b128 v[96:99], v0, s[4:5]
	v_and_b32_e32 v0, 0xffff, v86
	s_delay_alu instid0(VALU_DEP_1) | instskip(NEXT) | instid1(VALU_DEP_1)
	v_mul_u32_u24_e32 v0, 0xf0f1, v0
	v_lshrrev_b32_e32 v17, 20, v0
	v_mul_u32_u24_e32 v0, 0xf0f1, v1
	v_and_b32_e32 v1, 0xffff, v83
	s_delay_alu instid0(VALU_DEP_3) | instskip(NEXT) | instid1(VALU_DEP_3)
	v_mul_lo_u16 v6, v17, 17
	v_lshrrev_b32_e32 v15, 20, v0
	s_delay_alu instid0(VALU_DEP_3)
	v_mul_u32_u24_e32 v1, 0xf0f1, v1
	v_and_b32_e32 v0, 0xffff, v80
	v_mul_u32_u24_e32 v17, 0xcc, v17
	v_sub_nc_u16 v6, v86, v6
	v_mul_lo_u16 v8, v15, 17
	v_lshrrev_b32_e32 v14, 20, v1
	v_mul_u32_u24_e32 v0, 0xf0f1, v0
	v_mul_u32_u24_e32 v15, 0xcc, v15
	v_and_b32_e32 v26, 0xffff, v6
	v_sub_nc_u16 v1, v85, v8
	v_mul_lo_u16 v6, v14, 17
	v_mul_lo_u16 v8, 0xf1, v9
	v_lshrrev_b32_e32 v16, 20, v0
	v_lshlrev_b32_e32 v7, 4, v26
	v_and_b32_e32 v21, 0xffff, v1
	v_mul_lo_u16 v1, v13, 17
	v_sub_nc_u16 v6, v83, v6
	v_lshrrev_b16 v137, 12, v8
	global_load_b128 v[100:103], v7, s[4:5]
	v_lshlrev_b32_e32 v0, 4, v21
	v_sub_nc_u16 v1, v82, v1
	v_and_b32_e32 v19, 0xffff, v6
	v_mul_lo_u16 v6, v16, 17
	v_mul_u32_u24_e32 v14, 0xcc, v14
	global_load_b128 v[104:107], v0, s[4:5]
	v_and_b32_e32 v18, 0xffff, v1
	v_lshlrev_b32_e32 v0, 4, v19
	v_mul_lo_u16 v1, v137, 17
	v_sub_nc_u16 v6, v80, v6
	v_mul_u32_u24_e32 v13, 0xcc, v13
	v_lshlrev_b32_e32 v7, 4, v18
	global_load_b128 v[108:111], v0, s[4:5]
	v_mul_u32_u24_e32 v16, 0xcc, v16
	v_and_b32_e32 v20, 0xffff, v6
	global_load_b128 v[112:115], v7, s[4:5]
	v_sub_nc_u16 v0, v87, v1
	s_delay_alu instid0(VALU_DEP_1) | instskip(SKIP_1) | instid1(VALU_DEP_2)
	v_and_b32_e32 v138, 0xff, v0
	v_lshlrev_b32_e32 v0, 4, v20
	v_lshlrev_b32_e32 v1, 4, v138
	s_clause 0x1
	global_load_b128 v[116:119], v0, s[4:5]
	global_load_b128 v[120:123], v1, s[4:5]
	ds_load_2addr_b32 v[30:31], v72 offset0:100 offset1:151
	ds_load_2addr_b32 v[6:7], v75 offset0:98 offset1:149
	;; [unrolled: 1-line block ×8, first 2 shown]
	s_wait_loadcnt_dscnt 0xa05
	v_mul_f32_e32 v143, v1, v45
	v_mul_f32_e32 v141, v6, v47
	s_delay_alu instid0(VALU_DEP_2) | instskip(NEXT) | instid1(VALU_DEP_2)
	v_fmac_f32_e32 v143, v23, v44
	v_fmac_f32_e32 v141, v66, v46
	s_wait_loadcnt 0x9
	v_mul_f32_e32 v139, v30, v3
	v_dual_mul_f32 v3, v48, v3 :: v_dual_mul_f32 v140, v7, v5
	v_mul_f32_e32 v5, v67, v5
	s_delay_alu instid0(VALU_DEP_3) | instskip(NEXT) | instid1(VALU_DEP_3)
	v_fmac_f32_e32 v139, v48, v2
	v_fma_f32 v30, v30, v2, -v3
	v_dual_mul_f32 v3, v23, v45 :: v_dual_mul_f32 v2, v66, v47
	s_delay_alu instid0(VALU_DEP_4)
	v_fma_f32 v142, v7, v4, -v5
	ds_load_2addr_b32 v[7:8], v69 offset1:51
	v_and_b32_e32 v27, 0xffff, v27
	v_fma_f32 v23, v1, v44, -v3
	v_fma_f32 v46, v6, v46, -v2
	ds_load_2addr_b32 v[44:45], v78 offset0:122 offset1:173
	ds_load_2addr_b32 v[47:48], v73 offset0:150 offset1:201
	v_mul_u32_u24_e32 v27, 0xcc, v27
	v_fmac_f32_e32 v140, v67, v4
	ds_load_2addr_b32 v[66:67], v76 offset0:124 offset1:175
	s_wait_loadcnt_dscnt 0x808
	v_dual_mul_f32 v1, v64, v89 :: v_dual_mul_f32 v144, v35, v91
	s_wait_dscnt 0x7
	v_dual_mul_f32 v2, v51, v91 :: v_dual_mul_f32 v91, v38, v89
	s_delay_alu instid0(VALU_DEP_2) | instskip(NEXT) | instid1(VALU_DEP_3)
	v_fma_f32 v38, v38, v88, -v1
	v_fmac_f32_e32 v144, v51, v90
	s_delay_alu instid0(VALU_DEP_3) | instskip(NEXT) | instid1(VALU_DEP_4)
	v_fma_f32 v35, v35, v90, -v2
	v_fmac_f32_e32 v91, v64, v88
	ds_load_b32 v64, v69 offset:6528
	s_wait_loadcnt 0x7
	v_dual_mul_f32 v145, v39, v93 :: v_dual_and_b32 v88, 0xffff, v130
	v_mul_f32_e32 v1, v65, v93
	s_wait_dscnt 0x7
	v_mul_f32_e32 v51, v124, v95
	v_mul_f32_e32 v2, v62, v95
	v_lshlrev_b32_e32 v95, 2, v131
	v_fmac_f32_e32 v145, v65, v92
	v_fma_f32 v39, v39, v92, -v1
	v_fmac_f32_e32 v51, v62, v94
	v_fma_f32 v62, v124, v94, -v2
	v_add3_u32 v27, 0, v27, v95
	v_lshlrev_b32_e32 v95, 2, v138
	s_wait_loadcnt 0x6
	v_mul_f32_e32 v65, v125, v99
	v_dual_mul_f32 v1, v63, v99 :: v_dual_and_b32 v92, 0xffff, v137
	s_wait_dscnt 0x6
	v_mul_f32_e32 v90, v126, v97
	v_mul_f32_e32 v3, v60, v97
	v_fmac_f32_e32 v65, v63, v98
	v_fma_f32 v63, v125, v98, -v1
	v_mul_u32_u24_e32 v92, 0xcc, v92
	v_and_b32_e32 v93, 0xffff, v132
	v_and_b32_e32 v94, 0xffff, v134
	v_lshlrev_b32_e32 v98, 2, v136
	ds_load_2addr_b32 v[1:2], v69 offset0:102 offset1:153
	v_add3_u32 v92, 0, v92, v95
	v_fmac_f32_e32 v90, v60, v96
	v_fma_f32 v60, v126, v96, -v3
	ds_load_2addr_b32 v[5:6], v69 offset0:204 offset1:255
	ds_load_2addr_b32 v[3:4], v74 offset0:50 offset1:101
	v_mul_u32_u24_e32 v93, 0xcc, v93
	v_mul_u32_u24_e32 v88, 0xcc, v88
	v_lshlrev_b32_e32 v89, 2, v133
	v_lshlrev_b32_e32 v26, 2, v26
	;; [unrolled: 1-line block ×3, first 2 shown]
	s_delay_alu instid0(VALU_DEP_1) | instskip(SKIP_4) | instid1(VALU_DEP_3)
	v_add3_u32 v13, 0, v13, v18
	s_wait_loadcnt 0x5
	v_mul_f32_e32 v99, v127, v101
	v_mul_f32_e32 v95, v61, v101
	v_mul_u32_u24_e32 v94, 0xcc, v94
	v_fmac_f32_e32 v99, v61, v100
	s_wait_loadcnt_dscnt 0x408
	v_mul_f32_e32 v101, v129, v107
	v_fma_f32 v95, v127, v100, -v95
	v_mul_f32_e32 v100, v59, v107
	v_lshlrev_b32_e32 v97, 2, v135
	v_mul_f32_e32 v61, v58, v103
	v_fmac_f32_e32 v101, v59, v106
	s_wait_dscnt 0x0
	v_add_f32_e32 v124, v3, v95
	s_wait_loadcnt 0x3
	v_mul_f32_e32 v107, v44, v111
	v_add3_u32 v93, 0, v93, v97
	v_mul_f32_e32 v97, v128, v103
	v_mul_f32_e32 v59, v54, v111
	;; [unrolled: 1-line block ×3, first 2 shown]
	v_fma_f32 v100, v129, v106, -v100
	s_wait_loadcnt 0x2
	v_dual_mul_f32 v106, v55, v115 :: v_dual_fmac_f32 v97, v58, v102
	v_fmac_f32_e32 v107, v54, v110
	v_fma_f32 v44, v44, v110, -v59
	v_add_f32_e32 v110, v40, v145
	v_fma_f32 v58, v128, v102, -v61
	v_mul_f32_e32 v61, v56, v105
	v_mul_f32_e32 v102, v48, v109
	;; [unrolled: 1-line block ×5, first 2 shown]
	v_fma_f32 v47, v47, v104, -v61
	s_wait_loadcnt 0x1
	v_dual_mul_f32 v61, v67, v117 :: v_dual_fmac_f32 v102, v57, v108
	v_fma_f32 v48, v48, v108, -v105
	s_wait_loadcnt 0x0
	v_mul_f32_e32 v108, v31, v121
	v_mul_f32_e32 v54, v49, v121
	v_fma_f32 v45, v45, v114, -v106
	v_dual_sub_f32 v106, v38, v35 :: v_dual_fmac_f32 v103, v56, v104
	v_mul_f32_e32 v56, v52, v113
	v_mul_f32_e32 v104, v53, v117
	v_fmac_f32_e32 v61, v53, v116
	v_fmac_f32_e32 v108, v49, v120
	v_fma_f32 v31, v31, v120, -v54
	v_add_f32_e32 v120, v6, v60
	v_fma_f32 v53, v67, v116, -v104
	v_add_f32_e32 v67, v30, v142
	v_sub_f32_e32 v121, v60, v63
	v_add_f32_e32 v60, v60, v63
	v_dual_add_f32 v126, v25, v103 :: v_dual_fmac_f32 v111, v52, v112
	v_fma_f32 v52, v66, v112, -v56
	v_add_f32_e32 v66, v8, v30
	v_sub_f32_e32 v30, v30, v142
	v_add3_u32 v96, 0, v88, v89
	ds_load_2addr_b32 v[88:89], v74 offset0:152 offset1:203
	v_mul_f32_e32 v115, v34, v123
	v_dual_mul_f32 v105, v50, v123 :: v_dual_sub_f32 v54, v23, v46
	v_fmac_f32_e32 v8, -0.5, v67
	v_dual_add_f32 v49, v42, v143 :: v_dual_add_f32 v130, v32, v102
	v_add_f32_e32 v131, v102, v107
	v_sub_f32_e32 v102, v102, v107
	v_add_f32_e32 v134, v33, v111
	v_add_f32_e32 v56, v7, v23
	v_dual_add_f32 v23, v23, v46 :: v_dual_fmac_f32 v6, -0.5, v60
	v_add_f32_e32 v116, v5, v39
	s_delay_alu instid0(VALU_DEP_3) | instskip(NEXT) | instid1(VALU_DEP_3)
	v_dual_add_f32 v67, v37, v91 :: v_dual_add_f32 v104, v56, v46
	v_fma_f32 v7, -0.5, v23, v7
	v_add_f32_e32 v112, v145, v51
	v_add_f32_e32 v128, v4, v47
	;; [unrolled: 1-line block ×3, first 2 shown]
	s_wait_dscnt 0x0
	v_dual_add_f32 v132, v88, v48 :: v_dual_fmac_f32 v115, v50, v122
	v_dual_add_f32 v50, v143, v141 :: v_dual_lshlrev_b32 v11, 2, v11
	global_wb scope:SCOPE_SE
	s_barrier_signal -1
	s_barrier_wait -1
	v_fma_f32 v42, -0.5, v50, v42
	v_mul_f32_e32 v113, v64, v119
	v_mul_f32_e32 v57, v12, v119
	v_dual_add_f32 v50, v36, v108 :: v_dual_add_f32 v119, v90, v65
	s_delay_alu instid0(VALU_DEP_3) | instskip(SKIP_1) | instid1(VALU_DEP_4)
	v_dual_fmamk_f32 v136, v54, 0xbf5db3d7, v42 :: v_dual_fmac_f32 v113, v12, v118
	v_dual_add_f32 v59, v139, v140 :: v_dual_fmac_f32 v42, 0x3f5db3d7, v54
	v_fma_f32 v12, v64, v118, -v57
	v_dual_add_f32 v57, v43, v139 :: v_dual_add_f32 v118, v41, v90
	s_delay_alu instid0(VALU_DEP_3) | instskip(SKIP_3) | instid1(VALU_DEP_4)
	v_dual_fmac_f32 v43, -0.5, v59 :: v_dual_sub_f32 v90, v90, v65
	v_fmac_f32_e32 v109, v55, v114
	v_sub_f32_e32 v55, v143, v141
	v_sub_f32_e32 v64, v139, v140
	v_fmamk_f32 v54, v30, 0xbf5db3d7, v43
	v_dual_fmac_f32 v43, 0x3f5db3d7, v30 :: v_dual_add_f32 v30, v89, v52
	v_add_f32_e32 v56, v108, v115
	v_dual_sub_f32 v23, v108, v115 :: v_dual_add_f32 v108, v2, v38
	v_dual_add_f32 v38, v38, v35 :: v_dual_sub_f32 v133, v48, v44
	v_add_f32_e32 v48, v48, v44
	v_fma_f32 v34, v34, v122, -v105
	v_add_f32_e32 v46, v57, v140
	v_add_f32_e32 v59, v1, v31
	;; [unrolled: 1-line block ×3, first 2 shown]
	v_fma_f32 v36, -0.5, v56, v36
	v_sub_f32_e32 v57, v31, v34
	v_fmac_f32_e32 v2, -0.5, v38
	v_dual_add_f32 v38, v110, v51 :: v_dual_sub_f32 v125, v95, v58
	v_add_f32_e32 v129, v47, v100
	v_add_f32_e32 v105, v91, v144
	v_dual_add_f32 v31, v31, v34 :: v_dual_add_f32 v56, v122, v97
	v_sub_f32_e32 v91, v91, v144
	v_add_f32_e32 v95, v95, v58
	v_fmamk_f32 v137, v64, 0x3f5db3d7, v8
	v_fmac_f32_e32 v8, 0xbf5db3d7, v64
	v_fmac_f32_e32 v4, -0.5, v129
	v_fmac_f32_e32 v37, -0.5, v105
	v_add_f32_e32 v105, v108, v35
	v_add_f32_e32 v35, v53, v12
	;; [unrolled: 1-line block ×3, first 2 shown]
	v_dual_sub_f32 v99, v99, v97 :: v_dual_add_f32 v108, v116, v62
	v_dual_add_f32 v49, v49, v141 :: v_dual_add_f32 v138, v59, v34
	v_dual_add_f32 v97, v124, v58 :: v_dual_add_f32 v58, v126, v101
	v_add_f32_e32 v59, v67, v144
	v_add_f32_e32 v67, v0, v53
	v_fma_f32 v1, -0.5, v31, v1
	v_dual_add_f32 v127, v103, v101 :: v_dual_add_f32 v50, v50, v115
	v_add_f32_e32 v34, v22, v61
	v_add_f32_e32 v64, v61, v113
	v_fmac_f32_e32 v0, -0.5, v35
	v_fma_f32 v24, -0.5, v123, v24
	v_add3_u32 v10, 0, v10, v11
	v_add3_u32 v11, 0, v17, v26
	v_lshlrev_b32_e32 v17, 2, v21
	v_sub_f32_e32 v103, v103, v101
	v_sub_f32_e32 v53, v53, v12
	v_add_f32_e32 v12, v67, v12
	v_fma_f32 v3, -0.5, v95, v3
	v_fma_f32 v67, -0.5, v48, v88
	v_fmamk_f32 v88, v23, 0x3f5db3d7, v1
	v_fmac_f32_e32 v1, 0xbf5db3d7, v23
	v_fmamk_f32 v23, v106, 0xbf5db3d7, v37
	v_dual_fmac_f32 v37, 0x3f5db3d7, v106 :: v_dual_fmamk_f32 v106, v90, 0x3f5db3d7, v6
	v_dual_fmac_f32 v6, 0xbf5db3d7, v90 :: v_dual_add_f32 v135, v111, v109
	v_sub_f32_e32 v114, v39, v62
	v_add_f32_e32 v39, v39, v62
	v_sub_f32_e32 v61, v61, v113
	v_fmac_f32_e32 v25, -0.5, v127
	v_add_f32_e32 v107, v30, v45
	v_add_f32_e32 v30, v34, v113
	v_dual_fmac_f32 v22, -0.5, v64 :: v_dual_fmamk_f32 v115, v55, 0x3f5db3d7, v7
	v_fmac_f32_e32 v7, 0xbf5db3d7, v55
	v_fmac_f32_e32 v41, -0.5, v119
	v_fma_f32 v31, -0.5, v112, v40
	v_fma_f32 v32, -0.5, v131, v32
	v_fmamk_f32 v34, v57, 0xbf5db3d7, v36
	v_dual_fmac_f32 v36, 0x3f5db3d7, v57 :: v_dual_sub_f32 v47, v47, v100
	v_fmamk_f32 v40, v125, 0xbf5db3d7, v24
	v_fmac_f32_e32 v24, 0x3f5db3d7, v125
	v_add_f32_e32 v55, v52, v45
	v_add3_u32 v15, 0, v15, v17
	v_lshlrev_b32_e32 v17, 2, v19
	v_sub_f32_e32 v117, v145, v51
	v_sub_f32_e32 v111, v111, v109
	;; [unrolled: 1-line block ×3, first 2 shown]
	v_dual_add_f32 v101, v132, v44 :: v_dual_add_f32 v44, v134, v109
	v_fmamk_f32 v109, v99, 0x3f5db3d7, v3
	v_fmac_f32_e32 v3, 0xbf5db3d7, v99
	v_fmamk_f32 v99, v103, 0x3f5db3d7, v4
	v_fmac_f32_e32 v4, 0xbf5db3d7, v103
	v_fmac_f32_e32 v33, -0.5, v135
	v_lshlrev_b32_e32 v19, 2, v20
	global_inv scope:SCOPE_SE
	v_dual_add_f32 v51, v118, v65 :: v_dual_add_f32 v100, v128, v100
	v_fma_f32 v5, -0.5, v39, v5
	ds_store_2addr_b32 v96, v49, v136 offset1:17
	ds_store_b32 v96, v42 offset:136
	ds_store_2addr_b32 v27, v46, v54 offset1:17
	ds_store_b32 v27, v43 offset:136
	v_fmamk_f32 v35, v114, 0xbf5db3d7, v31
	v_fmac_f32_e32 v31, 0x3f5db3d7, v114
	v_fmamk_f32 v39, v121, 0xbf5db3d7, v41
	v_fmamk_f32 v42, v47, 0xbf5db3d7, v25
	v_fmac_f32_e32 v89, -0.5, v55
	v_fmac_f32_e32 v25, 0x3f5db3d7, v47
	v_fmamk_f32 v43, v133, 0xbf5db3d7, v32
	ds_store_2addr_b32 v92, v50, v34 offset1:17
	ds_store_b32 v92, v36 offset:136
	ds_store_2addr_b32 v93, v59, v23 offset1:17
	v_add3_u32 v23, 0, v94, v98
	v_add3_u32 v14, 0, v14, v17
	v_fmac_f32_e32 v41, 0x3f5db3d7, v121
	v_fmac_f32_e32 v32, 0x3f5db3d7, v133
	v_fmamk_f32 v45, v52, 0xbf5db3d7, v33
	v_fmac_f32_e32 v33, 0x3f5db3d7, v52
	v_fmamk_f32 v95, v91, 0x3f5db3d7, v2
	;; [unrolled: 2-line block ×3, first 2 shown]
	v_add3_u32 v16, 0, v16, v19
	v_dual_add_f32 v110, v120, v63 :: v_dual_fmamk_f32 v103, v102, 0x3f5db3d7, v67
	v_fmac_f32_e32 v67, 0xbf5db3d7, v102
	v_fmamk_f32 v102, v111, 0x3f5db3d7, v89
	v_fmac_f32_e32 v89, 0xbf5db3d7, v111
	v_fmac_f32_e32 v22, 0x3f5db3d7, v53
	v_fmamk_f32 v111, v61, 0x3f5db3d7, v0
	v_fmac_f32_e32 v0, 0xbf5db3d7, v61
	ds_store_b32 v93, v37 offset:136
	ds_store_2addr_b32 v23, v38, v35 offset1:17
	ds_store_b32 v23, v31 offset:136
	ds_store_2addr_b32 v10, v51, v39 offset1:17
	;; [unrolled: 2-line block ×7, first 2 shown]
	ds_store_b32 v16, v22 offset:136
	global_wb scope:SCOPE_SE
	s_wait_dscnt 0x0
	s_barrier_signal -1
	s_barrier_wait -1
	global_inv scope:SCOPE_SE
	ds_load_2addr_b32 v[34:35], v69 offset1:51
	ds_load_2addr_b32 v[30:31], v69 offset0:102 offset1:153
	ds_load_2addr_b32 v[64:65], v74 offset0:50 offset1:101
	;; [unrolled: 1-line block ×15, first 2 shown]
	ds_load_b32 v90, v69 offset:6528
	v_dual_fmamk_f32 v91, v117, 0x3f5db3d7, v5 :: v_dual_add_f32 v66, v66, v142
	v_fmac_f32_e32 v5, 0xbf5db3d7, v117
	global_wb scope:SCOPE_SE
	s_wait_dscnt 0x0
	s_barrier_signal -1
	s_barrier_wait -1
	global_inv scope:SCOPE_SE
	ds_store_2addr_b32 v96, v104, v115 offset1:17
	ds_store_b32 v96, v7 offset:136
	ds_store_2addr_b32 v27, v66, v137 offset1:17
	ds_store_b32 v27, v8 offset:136
	;; [unrolled: 2-line block ×5, first 2 shown]
	ds_store_2addr_b32 v10, v110, v106 offset1:17
	v_mul_u32_u24_e32 v2, 10, v70
	v_mul_lo_u16 v1, 0xa1, v9
	ds_store_b32 v10, v6 offset:136
	ds_store_2addr_b32 v11, v97, v109 offset1:17
	ds_store_b32 v11, v3 offset:136
	ds_store_2addr_b32 v15, v100, v99 offset1:17
	ds_store_b32 v15, v4 offset:136
	ds_store_2addr_b32 v14, v101, v103 offset1:17
	ds_store_b32 v14, v67 offset:136
	ds_store_2addr_b32 v13, v107, v102 offset1:17
	ds_store_b32 v13, v89 offset:136
	ds_store_2addr_b32 v16, v12, v111 offset1:17
	ds_store_b32 v16, v0 offset:136
	v_lshlrev_b32_e32 v0, 3, v2
	v_lshrrev_b16 v1, 13, v1
	global_wb scope:SCOPE_SE
	s_wait_dscnt 0x0
	s_barrier_signal -1
	s_barrier_wait -1
	global_inv scope:SCOPE_SE
	global_load_b128 v[92:95], v0, s[4:5] offset:272
	v_mul_lo_u16 v1, v1, 51
	s_delay_alu instid0(VALU_DEP_1) | instskip(NEXT) | instid1(VALU_DEP_1)
	v_sub_nc_u16 v1, v87, v1
	v_and_b32_e32 v66, 0xff, v1
	s_delay_alu instid0(VALU_DEP_1) | instskip(NEXT) | instid1(VALU_DEP_1)
	v_mul_u32_u24_e32 v1, 10, v66
	v_lshlrev_b32_e32 v20, 3, v1
	s_clause 0x8
	global_load_b128 v[96:99], v20, s[4:5] offset:272
	global_load_b128 v[100:103], v0, s[4:5] offset:288
	;; [unrolled: 1-line block ×9, first 2 shown]
	ds_load_2addr_b32 v[32:33], v69 offset0:102 offset1:153
	ds_load_2addr_b32 v[104:105], v74 offset0:50 offset1:101
	;; [unrolled: 1-line block ×15, first 2 shown]
	ds_load_b32 v132, v69 offset:6528
	ds_load_2addr_b32 v[36:37], v69 offset1:51
	global_wb scope:SCOPE_SE
	s_wait_loadcnt_dscnt 0x0
	s_barrier_signal -1
	s_barrier_wait -1
	global_inv scope:SCOPE_SE
	v_mul_f32_e32 v134, v104, v95
	v_mul_f32_e32 v136, v64, v95
	s_delay_alu instid0(VALU_DEP_2) | instskip(NEXT) | instid1(VALU_DEP_2)
	v_dual_fmac_f32 v134, v64, v94 :: v_dual_mul_f32 v133, v33, v93
	v_fma_f32 v104, v104, v94, -v136
	s_delay_alu instid0(VALU_DEP_2) | instskip(SKIP_3) | instid1(VALU_DEP_3)
	v_fmac_f32_e32 v133, v31, v92
	v_mul_f32_e32 v89, v105, v95
	v_mul_f32_e32 v135, v31, v93
	;; [unrolled: 1-line block ×3, first 2 shown]
	v_dual_fmac_f32 v89, v65, v94 :: v_dual_mul_f32 v88, v107, v97
	s_delay_alu instid0(VALU_DEP_2) | instskip(NEXT) | instid1(VALU_DEP_4)
	v_fma_f32 v65, v105, v94, -v95
	v_fma_f32 v95, v33, v92, -v135
	v_mul_f32_e32 v91, v106, v93
	v_mul_f32_e32 v93, v62, v93
	;; [unrolled: 1-line block ×5, first 2 shown]
	v_fmac_f32_e32 v91, v62, v92
	v_fma_f32 v92, v106, v92, -v93
	v_mul_f32_e32 v93, v59, v103
	v_fmac_f32_e32 v139, v58, v102
	v_mul_f32_e32 v137, v109, v101
	v_mul_f32_e32 v62, v112, v101
	v_fmac_f32_e32 v64, v59, v102
	v_fma_f32 v58, v111, v102, -v93
	v_mul_f32_e32 v111, v125, v5
	v_fma_f32 v94, v110, v102, -v94
	v_mul_f32_e32 v102, v122, v11
	v_mul_f32_e32 v138, v61, v101
	v_mul_f32_e32 v101, v56, v101
	v_fmac_f32_e32 v111, v39, v4
	v_mul_f32_e32 v97, v63, v97
	v_dual_mul_f32 v31, v113, v25 :: v_dual_fmac_f32 v88, v63, v96
	v_mul_f32_e32 v103, v57, v25
	v_mul_f32_e32 v25, v114, v27
	s_delay_alu instid0(VALU_DEP_4)
	v_fma_f32 v33, v107, v96, -v97
	v_dual_mul_f32 v96, v54, v27 :: v_dual_fmac_f32 v137, v61, v100
	v_fmac_f32_e32 v62, v56, v100
	v_mul_f32_e32 v56, v128, v9
	v_fmac_f32_e32 v102, v48, v10
	v_mul_f32_e32 v67, v108, v99
	v_mul_f32_e32 v99, v60, v99
	;; [unrolled: 1-line block ×5, first 2 shown]
	v_fma_f32 v106, v109, v100, -v138
	v_fma_f32 v27, v108, v98, -v99
	v_mul_f32_e32 v99, v116, v19
	v_mul_f32_e32 v107, v50, v17
	v_fma_f32 v63, v112, v100, -v101
	v_mul_f32_e32 v59, v123, v11
	v_mul_f32_e32 v100, v48, v11
	;; [unrolled: 1-line block ×3, first 2 shown]
	v_fmac_f32_e32 v25, v54, v26
	v_fma_f32 v11, v114, v26, -v96
	v_mul_f32_e32 v26, v42, v9
	v_mul_f32_e32 v54, v130, v5
	v_fmac_f32_e32 v56, v42, v8
	v_sub_f32_e32 v42, v137, v102
	v_dual_fmac_f32 v67, v60, v98 :: v_dual_mul_f32 v98, v55, v17
	v_mul_f32_e32 v60, v117, v19
	v_mul_f32_e32 v19, v53, v19
	;; [unrolled: 1-line block ×4, first 2 shown]
	v_fma_f32 v98, v115, v16, -v98
	v_mul_f32_e32 v112, v40, v5
	v_fmac_f32_e32 v99, v52, v18
	v_fma_f32 v52, v117, v18, -v19
	v_mul_f32_e32 v9, v131, v21
	v_fmac_f32_e32 v61, v50, v16
	v_fma_f32 v50, v118, v16, -v107
	v_mul_f32_e32 v19, v41, v21
	v_dual_mul_f32 v21, v90, v23 :: v_dual_fmac_f32 v54, v40, v4
	v_dual_sub_f32 v40, v134, v111 :: v_dual_fmac_f32 v97, v55, v16
	v_dual_mul_f32 v16, v132, v23 :: v_dual_mul_f32 v17, v119, v13
	v_dual_mul_f32 v108, v51, v13 :: v_dual_mul_f32 v13, v120, v15
	v_mul_f32_e32 v93, v46, v15
	v_fma_f32 v15, v113, v24, -v103
	s_delay_alu instid0(VALU_DEP_4)
	v_fmac_f32_e32 v16, v90, v22
	v_fma_f32 v21, v132, v22, -v21
	v_dual_add_f32 v22, v134, v111 :: v_dual_fmac_f32 v31, v57, v24
	v_mul_f32_e32 v24, v39, v5
	v_mul_f32_e32 v96, v126, v7
	v_mul_f32_e32 v57, v127, v7
	v_mul_f32_e32 v103, v44, v7
	v_mul_f32_e32 v55, v45, v7
	v_mul_f32_e32 v7, v124, v3
	v_fma_f32 v23, v125, v4, -v24
	v_fmac_f32_e32 v60, v53, v18
	v_fma_f32 v105, v116, v18, -v105
	v_mul_f32_e32 v18, v38, v3
	v_dual_fmac_f32 v7, v38, v2 :: v_dual_add_f32 v24, v36, v95
	v_dual_add_f32 v38, v104, v23 :: v_dual_mul_f32 v5, v129, v1
	v_fmac_f32_e32 v13, v46, v14
	v_fma_f32 v3, v120, v14, -v93
	v_fma_f32 v14, v126, v6, -v103
	;; [unrolled: 1-line block ×3, first 2 shown]
	v_dual_add_f32 v24, v24, v104 :: v_dual_mul_f32 v113, v43, v1
	v_mul_f32_e32 v112, 0xbe11bafb, v38
	v_fmac_f32_e32 v59, v49, v10
	v_fmac_f32_e32 v96, v44, v6
	;; [unrolled: 1-line block ×3, first 2 shown]
	v_dual_fmac_f32 v5, v43, v0 :: v_dual_add_f32 v24, v24, v106
	v_fma_f32 v4, v129, v0, -v113
	v_dual_sub_f32 v0, v95, v14 :: v_dual_fmamk_f32 v129, v40, 0xbf7d64f0, v112
	v_fmac_f32_e32 v112, 0x3f7d64f0, v40
	v_fma_f32 v49, v127, v6, -v55
	v_fma_f32 v6, v124, v2, -v18
	v_add_f32_e32 v2, v95, v14
	v_fmac_f32_e32 v109, v47, v8
	v_mul_f32_e32 v45, 0xbf0a6770, v0
	v_mul_f32_e32 v47, 0xbf68dda4, v0
	;; [unrolled: 1-line block ×10, first 2 shown]
	v_add_f32_e32 v18, v133, v96
	v_fma_f32 v1, v119, v12, -v108
	v_mul_f32_e32 v108, 0xbf27a4f4, v38
	v_add_f32_e32 v24, v24, v94
	s_delay_alu instid0(VALU_DEP_4)
	v_fmamk_f32 v116, v18, 0x3ed4b147, v47
	v_fmamk_f32 v118, v18, 0xbe11bafb, v55
	v_fmac_f32_e32 v17, v51, v12
	v_fma_f32 v12, v122, v10, -v100
	v_fma_f32 v51, v128, v8, -v26
	v_fmamk_f32 v122, v18, 0xbf75a155, v0
	v_fma_f32 v53, v123, v10, -v101
	v_fma_f32 v10, v121, v8, -v110
	;; [unrolled: 1-line block ×3, first 2 shown]
	v_dual_sub_f32 v19, v133, v96 :: v_dual_mul_f32 v110, 0xbf75a155, v38
	v_sub_f32_e32 v43, v106, v12
	v_add_f32_e32 v44, v106, v12
	v_fmamk_f32 v114, v18, 0x3f575c64, v45
	s_delay_alu instid0(VALU_DEP_4)
	v_fmamk_f32 v119, v19, 0x3f7d64f0, v90
	v_fmac_f32_e32 v90, 0xbf7d64f0, v19
	v_fmamk_f32 v128, v40, 0xbe903f40, v110
	v_fmamk_f32 v115, v19, 0x3f0a6770, v46
	v_fma_f32 v45, 0x3f575c64, v18, -v45
	v_fmac_f32_e32 v46, 0xbf0a6770, v19
	v_fmamk_f32 v117, v19, 0x3f68dda4, v48
	v_fma_f32 v47, 0x3ed4b147, v18, -v47
	v_fmac_f32_e32 v48, 0xbf68dda4, v19
	v_fma_f32 v55, 0xbe11bafb, v18, -v55
	v_fmamk_f32 v120, v18, 0xbf27a4f4, v93
	v_fma_f32 v93, 0xbf27a4f4, v18, -v93
	v_fma_f32 v0, 0xbf75a155, v18, -v0
	v_fmamk_f32 v18, v19, 0x3e903f40, v2
	v_fmac_f32_e32 v2, 0xbe903f40, v19
	v_fmac_f32_e32 v110, 0x3e903f40, v40
	v_dual_add_f32 v106, v36, v115 :: v_dual_fmac_f32 v9, v41, v20
	s_delay_alu instid0(VALU_DEP_4)
	v_add_f32_e32 v18, v36, v18
	v_sub_f32_e32 v20, v104, v23
	v_mul_f32_e32 v104, 0x3ed4b147, v38
	v_mul_f32_e32 v38, 0x3f575c64, v38
	v_dual_add_f32 v90, v36, v90 :: v_dual_fmamk_f32 v121, v19, 0x3f4178ce, v95
	v_fmac_f32_e32 v95, 0xbf4178ce, v19
	s_delay_alu instid0(VALU_DEP_3)
	v_dual_add_f32 v41, v137, v102 :: v_dual_fmamk_f32 v130, v40, 0xbf0a6770, v38
	v_fmac_f32_e32 v38, 0x3f0a6770, v40
	v_add_f32_e32 v46, v36, v46
	v_add_f32_e32 v115, v36, v117
	;; [unrolled: 1-line block ×8, first 2 shown]
	v_dual_add_f32 v26, v34, v133 :: v_dual_mul_f32 v101, 0xbf4178ce, v20
	v_dual_mul_f32 v100, 0xbf68dda4, v20 :: v_dual_add_f32 v47, v34, v47
	s_delay_alu instid0(VALU_DEP_3) | instskip(NEXT) | instid1(VALU_DEP_3)
	v_dual_add_f32 v2, v2, v105 :: v_dual_mul_f32 v107, 0x3f7d64f0, v20
	v_add_f32_e32 v26, v26, v134
	s_delay_alu instid0(VALU_DEP_4) | instskip(SKIP_1) | instid1(VALU_DEP_4)
	v_fmamk_f32 v123, v22, 0xbf27a4f4, v101
	v_fma_f32 v101, 0xbf27a4f4, v22, -v101
	v_dual_add_f32 v2, v2, v10 :: v_dual_mul_f32 v103, 0x3e903f40, v20
	v_mul_f32_e32 v20, 0x3f0a6770, v20
	v_add_f32_e32 v26, v26, v137
	v_fmamk_f32 v19, v22, 0x3ed4b147, v100
	s_delay_alu instid0(VALU_DEP_4)
	v_add_f32_e32 v2, v2, v12
	v_fma_f32 v100, 0x3ed4b147, v22, -v100
	v_fmamk_f32 v124, v22, 0xbf75a155, v103
	v_fma_f32 v103, 0xbf75a155, v22, -v103
	v_fmamk_f32 v126, v22, 0x3f575c64, v20
	v_fma_f32 v20, 0x3f575c64, v22, -v20
	v_add_f32_e32 v26, v26, v139
	v_add_f32_e32 v23, v2, v23
	v_fmamk_f32 v125, v22, 0xbe11bafb, v107
	v_fma_f32 v107, 0xbe11bafb, v22, -v107
	v_fmamk_f32 v22, v40, 0x3f68dda4, v104
	v_fmac_f32_e32 v104, 0xbf68dda4, v40
	v_fmamk_f32 v127, v40, 0x3f4178ce, v108
	v_fmac_f32_e32 v108, 0xbf4178ce, v40
	v_add_f32_e32 v40, v34, v114
	v_add_f32_e32 v45, v34, v45
	;; [unrolled: 1-line block ×10, first 2 shown]
	v_dual_add_f32 v0, v26, v97 :: v_dual_mul_f32 v113, 0xbf7d64f0, v43
	v_add_f32_e32 v26, v104, v46
	v_add_f32_e32 v18, v130, v18
	s_delay_alu instid0(VALU_DEP_4) | instskip(NEXT) | instid1(VALU_DEP_4)
	v_add_f32_e32 v20, v20, v34
	v_add_f32_e32 v0, v0, v99
	v_add_f32_e32 v34, v38, v36
	v_mul_f32_e32 v38, 0x3e903f40, v43
	v_dual_add_f32 v46, v101, v47 :: v_dual_add_f32 v47, v108, v48
	s_delay_alu instid0(VALU_DEP_4) | instskip(SKIP_3) | instid1(VALU_DEP_4)
	v_add_f32_e32 v0, v0, v109
	v_add_f32_e32 v48, v124, v116
	;; [unrolled: 1-line block ×6, first 2 shown]
	s_delay_alu instid0(VALU_DEP_2) | instskip(NEXT) | instid1(VALU_DEP_1)
	v_add_f32_e32 v0, v0, v111
	v_add_f32_e32 v2, v0, v96
	;; [unrolled: 1-line block ×3, first 2 shown]
	v_mul_f32_e32 v14, 0xbe11bafb, v44
	v_dual_add_f32 v24, v100, v45 :: v_dual_add_f32 v45, v127, v115
	v_dual_mul_f32 v96, 0xbf75a155, v44 :: v_dual_add_f32 v101, v129, v119
	s_delay_alu instid0(VALU_DEP_3) | instskip(SKIP_3) | instid1(VALU_DEP_4)
	v_fmamk_f32 v36, v42, 0x3f7d64f0, v14
	v_dual_fmac_f32 v14, 0xbf7d64f0, v42 :: v_dual_add_f32 v19, v19, v40
	v_add_f32_e32 v40, v123, v114
	v_add_f32_e32 v100, v128, v117
	;; [unrolled: 1-line block ×3, first 2 shown]
	s_delay_alu instid0(VALU_DEP_4) | instskip(SKIP_3) | instid1(VALU_DEP_3)
	v_add_f32_e32 v14, v14, v26
	v_dual_fmamk_f32 v36, v41, 0xbf75a155, v38 :: v_dual_add_f32 v55, v103, v55
	v_fma_f32 v38, 0xbf75a155, v41, -v38
	v_dual_add_f32 v95, v112, v95 :: v_dual_add_f32 v90, v125, v118
	v_add_f32_e32 v26, v36, v40
	v_fmamk_f32 v36, v42, 0xbe903f40, v96
	s_delay_alu instid0(VALU_DEP_4) | instskip(SKIP_2) | instid1(VALU_DEP_3)
	v_dual_add_f32 v38, v38, v46 :: v_dual_fmamk_f32 v23, v41, 0xbe11bafb, v113
	v_mul_f32_e32 v103, 0x3ed4b147, v44
	v_fmac_f32_e32 v96, 0x3e903f40, v42
	v_dual_add_f32 v36, v36, v45 :: v_dual_add_f32 v19, v23, v19
	v_fma_f32 v23, 0xbe11bafb, v41, -v113
	s_delay_alu instid0(VALU_DEP_1) | instskip(SKIP_3) | instid1(VALU_DEP_4)
	v_dual_add_f32 v23, v23, v24 :: v_dual_mul_f32 v24, 0x3f68dda4, v43
	v_add_f32_e32 v93, v107, v93
	v_add_f32_e32 v45, v96, v47
	v_sub_f32_e32 v107, v65, v39
	v_fmamk_f32 v40, v41, 0x3ed4b147, v24
	v_fma_f32 v24, 0x3ed4b147, v41, -v24
	s_delay_alu instid0(VALU_DEP_2) | instskip(SKIP_1) | instid1(VALU_DEP_3)
	v_add_f32_e32 v40, v40, v48
	v_mul_f32_e32 v48, 0x3f575c64, v44
	v_add_f32_e32 v24, v24, v55
	v_fmamk_f32 v46, v42, 0xbf68dda4, v103
	v_mul_f32_e32 v47, 0xbf0a6770, v43
	v_mul_f32_e32 v43, 0xbf4178ce, v43
	v_fmamk_f32 v55, v42, 0x3f0a6770, v48
	s_delay_alu instid0(VALU_DEP_4) | instskip(NEXT) | instid1(VALU_DEP_4)
	v_add_f32_e32 v46, v46, v100
	v_fmamk_f32 v96, v41, 0x3f575c64, v47
	v_fma_f32 v47, 0x3f575c64, v41, -v47
	s_delay_alu instid0(VALU_DEP_4) | instskip(NEXT) | instid1(VALU_DEP_2)
	v_dual_add_f32 v55, v55, v101 :: v_dual_fmac_f32 v48, 0xbf0a6770, v42
	v_dual_add_f32 v90, v96, v90 :: v_dual_add_f32 v47, v47, v93
	s_delay_alu instid0(VALU_DEP_2) | instskip(SKIP_2) | instid1(VALU_DEP_3)
	v_dual_fmac_f32 v103, 0x3f68dda4, v42 :: v_dual_add_f32 v48, v48, v95
	v_dual_fmamk_f32 v96, v41, 0xbf27a4f4, v43 :: v_dual_sub_f32 v93, v94, v10
	v_add_f32_e32 v10, v94, v10
	v_add_f32_e32 v12, v103, v12
	s_delay_alu instid0(VALU_DEP_3) | instskip(SKIP_4) | instid1(VALU_DEP_1)
	v_dual_mul_f32 v44, 0xbf27a4f4, v44 :: v_dual_add_f32 v95, v96, v102
	v_add_f32_e32 v100, v139, v109
	v_fma_f32 v41, 0xbf27a4f4, v41, -v43
	v_mul_f32_e32 v43, 0xbf27a4f4, v10
	v_mul_f32_e32 v94, 0xbf4178ce, v93
	v_dual_add_f32 v20, v41, v20 :: v_dual_fmamk_f32 v101, v100, 0xbf27a4f4, v94
	v_fmamk_f32 v96, v42, 0x3f4178ce, v44
	v_fmac_f32_e32 v44, 0xbf4178ce, v42
	v_dual_sub_f32 v42, v139, v109 :: v_dual_mul_f32 v109, 0xbf68dda4, v107
	s_delay_alu instid0(VALU_DEP_3) | instskip(NEXT) | instid1(VALU_DEP_2)
	v_dual_add_f32 v19, v101, v19 :: v_dual_add_f32 v18, v96, v18
	v_fmamk_f32 v41, v42, 0x3f4178ce, v43
	s_delay_alu instid0(VALU_DEP_1) | instskip(SKIP_3) | instid1(VALU_DEP_1)
	v_add_f32_e32 v22, v41, v22
	v_mul_f32_e32 v41, 0xbe11bafb, v10
	v_fmac_f32_e32 v43, 0xbf4178ce, v42
	v_fma_f32 v94, 0xbf27a4f4, v100, -v94
	v_dual_add_f32 v14, v43, v14 :: v_dual_add_f32 v23, v94, v23
	s_delay_alu instid0(VALU_DEP_4) | instskip(SKIP_1) | instid1(VALU_DEP_2)
	v_fmamk_f32 v94, v42, 0xbf7d64f0, v41
	v_fmac_f32_e32 v41, 0x3f7d64f0, v42
	v_dual_mul_f32 v43, 0xbf0a6770, v93 :: v_dual_add_f32 v36, v94, v36
	s_delay_alu instid0(VALU_DEP_2) | instskip(SKIP_2) | instid1(VALU_DEP_4)
	v_dual_add_f32 v34, v44, v34 :: v_dual_add_f32 v45, v41, v45
	v_mul_f32_e32 v44, 0x3f7d64f0, v93
	v_mul_f32_e32 v94, 0x3f575c64, v10
	v_fma_f32 v41, 0x3f575c64, v100, -v43
	s_delay_alu instid0(VALU_DEP_3) | instskip(NEXT) | instid1(VALU_DEP_2)
	v_fmamk_f32 v96, v100, 0xbe11bafb, v44
	v_add_f32_e32 v24, v41, v24
	s_delay_alu instid0(VALU_DEP_2) | instskip(SKIP_3) | instid1(VALU_DEP_3)
	v_add_f32_e32 v96, v96, v26
	v_fma_f32 v26, 0xbe11bafb, v100, -v44
	v_fmamk_f32 v44, v100, 0x3f575c64, v43
	v_mul_f32_e32 v43, 0xbf75a155, v10
	v_add_f32_e32 v38, v26, v38
	v_mul_f32_e32 v26, 0xbe903f40, v93
	s_delay_alu instid0(VALU_DEP_1) | instskip(NEXT) | instid1(VALU_DEP_1)
	v_fmamk_f32 v101, v100, 0xbf75a155, v26
	v_add_f32_e32 v90, v101, v90
	v_add_f32_e32 v101, v97, v99
	v_dual_sub_f32 v97, v97, v99 :: v_dual_add_f32 v44, v44, v40
	v_fmamk_f32 v40, v42, 0x3f0a6770, v94
	v_fmac_f32_e32 v94, 0xbf0a6770, v42
	s_delay_alu instid0(VALU_DEP_2) | instskip(SKIP_4) | instid1(VALU_DEP_4)
	v_add_f32_e32 v46, v40, v46
	v_fmamk_f32 v40, v42, 0x3e903f40, v43
	v_fmac_f32_e32 v43, 0xbe903f40, v42
	v_fma_f32 v26, 0xbf75a155, v100, -v26
	v_add_f32_e32 v94, v94, v12
	v_dual_mul_f32 v12, 0x3f68dda4, v93 :: v_dual_add_f32 v55, v40, v55
	v_sub_f32_e32 v93, v98, v105
	s_delay_alu instid0(VALU_DEP_4) | instskip(SKIP_2) | instid1(VALU_DEP_3)
	v_dual_add_f32 v47, v26, v47 :: v_dual_mul_f32 v10, 0x3ed4b147, v10
	v_add_f32_e32 v98, v98, v105
	v_add_f32_e32 v48, v43, v48
	v_fmamk_f32 v26, v42, 0xbf68dda4, v10
	v_fmac_f32_e32 v10, 0x3f68dda4, v42
	s_delay_alu instid0(VALU_DEP_2) | instskip(SKIP_3) | instid1(VALU_DEP_3)
	v_add_f32_e32 v102, v26, v18
	v_fmamk_f32 v40, v100, 0x3ed4b147, v12
	v_fma_f32 v12, 0x3ed4b147, v100, -v12
	v_mul_f32_e32 v26, 0xbf75a155, v98
	v_dual_add_f32 v100, v10, v34 :: v_dual_add_f32 v95, v40, v95
	s_delay_alu instid0(VALU_DEP_3) | instskip(NEXT) | instid1(VALU_DEP_3)
	v_dual_mul_f32 v40, 0xbe903f40, v93 :: v_dual_add_f32 v99, v12, v20
	v_fmamk_f32 v12, v97, 0x3e903f40, v26
	v_mul_f32_e32 v20, 0x3f575c64, v98
	v_fmac_f32_e32 v26, 0xbe903f40, v97
	s_delay_alu instid0(VALU_DEP_4) | instskip(NEXT) | instid1(VALU_DEP_2)
	v_fmamk_f32 v18, v101, 0xbf75a155, v40
	v_add_f32_e32 v26, v26, v14
	s_delay_alu instid0(VALU_DEP_2) | instskip(SKIP_4) | instid1(VALU_DEP_4)
	v_add_f32_e32 v10, v18, v19
	v_mul_f32_e32 v18, 0x3f0a6770, v93
	v_fma_f32 v19, 0xbf75a155, v101, -v40
	v_add_f32_e32 v40, v12, v22
	v_mul_f32_e32 v22, 0xbf4178ce, v93
	v_fmamk_f32 v34, v101, 0x3f575c64, v18
	s_delay_alu instid0(VALU_DEP_4) | instskip(SKIP_2) | instid1(VALU_DEP_4)
	v_dual_add_f32 v12, v19, v23 :: v_dual_fmamk_f32 v19, v97, 0xbf0a6770, v20
	v_mul_f32_e32 v23, 0xbf27a4f4, v98
	v_fmac_f32_e32 v20, 0x3f0a6770, v97
	v_add_f32_e32 v14, v34, v96
	v_fma_f32 v18, 0x3f575c64, v101, -v18
	v_add_f32_e32 v41, v19, v36
	v_fmamk_f32 v19, v101, 0xbf27a4f4, v22
	v_fmamk_f32 v34, v97, 0x3f4178ce, v23
	v_fma_f32 v22, 0xbf27a4f4, v101, -v22
	v_add_f32_e32 v42, v20, v45
	s_delay_alu instid0(VALU_DEP_4) | instskip(NEXT) | instid1(VALU_DEP_4)
	v_dual_fmac_f32 v23, 0xbf4178ce, v97 :: v_dual_add_f32 v20, v19, v44
	v_add_f32_e32 v43, v34, v46
	s_delay_alu instid0(VALU_DEP_4)
	v_dual_add_f32 v19, v22, v24 :: v_dual_add_f32 v22, v35, v91
	v_mul_f32_e32 v34, 0x3f68dda4, v93
	v_add_f32_e32 v24, v37, v92
	v_mul_f32_e32 v36, 0x3ed4b147, v98
	v_add_f32_e32 v44, v23, v94
	v_add_f32_e32 v22, v22, v89
	s_delay_alu instid0(VALU_DEP_4) | instskip(SKIP_2) | instid1(VALU_DEP_4)
	v_dual_add_f32 v18, v18, v38 :: v_dual_add_f32 v23, v24, v65
	v_fmamk_f32 v24, v101, 0x3ed4b147, v34
	v_fmamk_f32 v38, v97, 0xbf68dda4, v36
	v_add_f32_e32 v46, v22, v62
	v_fma_f32 v34, 0x3ed4b147, v101, -v34
	v_add_f32_e32 v94, v23, v63
	s_delay_alu instid0(VALU_DEP_4)
	v_dual_fmac_f32 v36, 0x3f68dda4, v97 :: v_dual_add_f32 v45, v38, v55
	v_add_f32_e32 v22, v24, v90
	v_add_f32_e32 v24, v46, v64
	;; [unrolled: 1-line block ×4, first 2 shown]
	v_mul_f32_e32 v38, 0xbf7d64f0, v93
	v_sub_f32_e32 v90, v92, v49
	v_add_f32_e32 v24, v24, v61
	v_add_f32_e32 v92, v92, v49
	;; [unrolled: 1-line block ×3, first 2 shown]
	s_delay_alu instid0(VALU_DEP_4)
	v_mul_f32_e32 v93, 0xbf0a6770, v90
	v_dual_mul_f32 v55, 0xbe11bafb, v98 :: v_dual_add_f32 v46, v36, v48
	v_fmamk_f32 v36, v101, 0xbe11bafb, v38
	v_add_f32_e32 v48, v24, v60
	v_add_f32_e32 v34, v34, v52
	v_fma_f32 v38, 0xbe11bafb, v101, -v38
	s_delay_alu instid0(VALU_DEP_4) | instskip(NEXT) | instid1(VALU_DEP_4)
	v_dual_fmamk_f32 v47, v97, 0x3f7d64f0, v55 :: v_dual_add_f32 v24, v36, v95
	v_add_f32_e32 v36, v48, v56
	s_delay_alu instid0(VALU_DEP_4) | instskip(NEXT) | instid1(VALU_DEP_4)
	v_add_f32_e32 v48, v34, v51
	v_add_f32_e32 v34, v38, v99
	;; [unrolled: 1-line block ×3, first 2 shown]
	s_delay_alu instid0(VALU_DEP_4) | instskip(SKIP_1) | instid1(VALU_DEP_3)
	v_dual_fmac_f32 v55, 0xbf7d64f0, v97 :: v_dual_add_f32 v36, v36, v59
	v_mul_f32_e32 v103, 0xbf4178ce, v90
	v_dual_sub_f32 v91, v91, v57 :: v_dual_fmamk_f32 v94, v38, 0x3f575c64, v93
	v_fma_f32 v93, 0x3f575c64, v38, -v93
	s_delay_alu instid0(VALU_DEP_4) | instskip(SKIP_2) | instid1(VALU_DEP_4)
	v_add_f32_e32 v36, v36, v54
	v_sub_f32_e32 v54, v89, v54
	v_dual_add_f32 v48, v48, v53 :: v_dual_fmamk_f32 v105, v38, 0xbf27a4f4, v103
	v_add_f32_e32 v93, v35, v93
	v_fma_f32 v103, 0xbf27a4f4, v38, -v103
	s_delay_alu instid0(VALU_DEP_3)
	v_dual_add_f32 v47, v47, v102 :: v_dual_add_f32 v96, v48, v39
	v_add_f32_e32 v48, v55, v100
	v_add_f32_e32 v55, v35, v94
	v_mul_f32_e32 v94, 0xbf68dda4, v90
	v_mul_f32_e32 v100, 0xbf7d64f0, v90
	v_dual_mul_f32 v90, 0xbe903f40, v90 :: v_dual_add_f32 v49, v96, v49
	v_fma_f32 v96, 0x3ed4b147, v108, -v109
	s_delay_alu instid0(VALU_DEP_4)
	v_fmamk_f32 v98, v38, 0x3ed4b147, v94
	v_fma_f32 v94, 0x3ed4b147, v38, -v94
	v_fmamk_f32 v101, v38, 0xbe11bafb, v100
	v_fma_f32 v100, 0xbe11bafb, v38, -v100
	;; [unrolled: 2-line block ×3, first 2 shown]
	v_mul_f32_e32 v90, 0xbf27a4f4, v92
	v_mul_f32_e32 v95, 0x3f575c64, v92
	;; [unrolled: 1-line block ×4, first 2 shown]
	v_add_f32_e32 v94, v35, v94
	v_add_f32_e32 v101, v35, v101
	;; [unrolled: 1-line block ×6, first 2 shown]
	v_dual_mul_f32 v92, 0xbf75a155, v92 :: v_dual_add_f32 v39, v65, v39
	v_dual_add_f32 v93, v96, v93 :: v_dual_add_f32 v98, v35, v98
	v_add_f32_e32 v35, v35, v38
	v_fmamk_f32 v38, v91, 0x3f4178ce, v90
	v_fmac_f32_e32 v90, 0xbf4178ce, v91
	v_dual_add_f32 v36, v36, v57 :: v_dual_fmamk_f32 v57, v91, 0x3f0a6770, v95
	v_fmac_f32_e32 v95, 0xbf0a6770, v91
	v_fmamk_f32 v99, v91, 0x3f68dda4, v97
	v_fmac_f32_e32 v97, 0xbf68dda4, v91
	v_fmamk_f32 v104, v91, 0x3f7d64f0, v102
	;; [unrolled: 2-line block ×3, first 2 shown]
	v_dual_fmac_f32 v92, 0xbe903f40, v91 :: v_dual_add_f32 v89, v37, v90
	v_dual_mul_f32 v90, 0x3ed4b147, v39 :: v_dual_fmamk_f32 v91, v108, 0x3ed4b147, v109
	v_add_f32_e32 v57, v37, v57
	v_add_f32_e32 v95, v37, v95
	;; [unrolled: 1-line block ×8, first 2 shown]
	v_dual_add_f32 v37, v37, v92 :: v_dual_fmamk_f32 v92, v54, 0x3f68dda4, v90
	v_add_f32_e32 v55, v91, v55
	v_mul_f32_e32 v91, 0xbf4178ce, v107
	v_fmac_f32_e32 v90, 0xbf68dda4, v54
	v_mul_f32_e32 v109, 0xbf27a4f4, v39
	v_dual_add_f32 v57, v92, v57 :: v_dual_mul_f32 v96, 0x3e903f40, v107
	s_delay_alu instid0(VALU_DEP_4) | instskip(NEXT) | instid1(VALU_DEP_4)
	v_fmamk_f32 v92, v108, 0xbf27a4f4, v91
	v_add_f32_e32 v90, v90, v95
	s_delay_alu instid0(VALU_DEP_4)
	v_fmamk_f32 v95, v54, 0x3f4178ce, v109
	v_fma_f32 v91, 0xbf27a4f4, v108, -v91
	v_fmac_f32_e32 v109, 0xbf4178ce, v54
	v_add_f32_e32 v92, v92, v98
	v_mul_f32_e32 v98, 0xbf75a155, v39
	v_dual_fmamk_f32 v110, v108, 0xbf75a155, v96 :: v_dual_add_f32 v95, v95, v99
	s_delay_alu instid0(VALU_DEP_4) | instskip(NEXT) | instid1(VALU_DEP_3)
	v_dual_add_f32 v91, v91, v94 :: v_dual_add_f32 v94, v109, v97
	v_fmamk_f32 v97, v54, 0xbe903f40, v98
	s_delay_alu instid0(VALU_DEP_3) | instskip(SKIP_2) | instid1(VALU_DEP_4)
	v_add_f32_e32 v99, v110, v101
	v_mul_f32_e32 v101, 0x3f7d64f0, v107
	v_fma_f32 v96, 0xbf75a155, v108, -v96
	v_dual_fmac_f32 v98, 0x3e903f40, v54 :: v_dual_add_f32 v97, v97, v104
	s_delay_alu instid0(VALU_DEP_3) | instskip(NEXT) | instid1(VALU_DEP_3)
	v_dual_mul_f32 v104, 0xbe11bafb, v39 :: v_dual_fmamk_f32 v109, v108, 0xbe11bafb, v101
	v_add_f32_e32 v96, v96, v100
	v_mul_f32_e32 v100, 0x3f0a6770, v107
	v_fma_f32 v101, 0xbe11bafb, v108, -v101
	v_add_f32_e32 v98, v98, v102
	v_fmamk_f32 v102, v54, 0xbf7d64f0, v104
	v_fmac_f32_e32 v104, 0x3f7d64f0, v54
	v_fmamk_f32 v107, v108, 0x3f575c64, v100
	v_mul_f32_e32 v39, 0x3f575c64, v39
	v_add_f32_e32 v101, v101, v103
	v_sub_f32_e32 v103, v63, v53
	v_dual_add_f32 v53, v63, v53 :: v_dual_add_f32 v38, v102, v38
	v_dual_add_f32 v89, v104, v89 :: v_dual_add_f32 v102, v107, v106
	v_fmamk_f32 v104, v54, 0xbf0a6770, v39
	v_fma_f32 v100, 0x3f575c64, v108, -v100
	v_add_f32_e32 v63, v62, v59
	v_mul_f32_e32 v106, 0xbf7d64f0, v103
	v_dual_fmac_f32 v39, 0x3f0a6770, v54 :: v_dual_sub_f32 v54, v62, v59
	v_mul_f32_e32 v59, 0xbe11bafb, v53
	s_delay_alu instid0(VALU_DEP_3) | instskip(SKIP_1) | instid1(VALU_DEP_4)
	v_dual_add_f32 v62, v104, v65 :: v_dual_fmamk_f32 v65, v63, 0xbe11bafb, v106
	v_add_f32_e32 v35, v100, v35
	v_add_f32_e32 v37, v39, v37
	s_delay_alu instid0(VALU_DEP_4)
	v_fmamk_f32 v39, v54, 0x3f7d64f0, v59
	v_mul_f32_e32 v100, 0x3e903f40, v103
	v_fmac_f32_e32 v59, 0xbf7d64f0, v54
	v_add_f32_e32 v55, v65, v55
	v_fma_f32 v65, 0xbe11bafb, v63, -v106
	v_add_f32_e32 v39, v39, v57
	v_dual_fmamk_f32 v57, v63, 0xbf75a155, v100 :: v_dual_mul_f32 v104, 0xbf75a155, v53
	v_dual_add_f32 v59, v59, v90 :: v_dual_mul_f32 v90, 0x3f68dda4, v103
	s_delay_alu instid0(VALU_DEP_4) | instskip(NEXT) | instid1(VALU_DEP_3)
	v_add_f32_e32 v65, v65, v93
	v_dual_add_f32 v57, v57, v92 :: v_dual_fmamk_f32 v92, v54, 0xbe903f40, v104
	v_fma_f32 v93, 0xbf75a155, v63, -v100
	v_fmac_f32_e32 v104, 0x3e903f40, v54
	v_fmamk_f32 v100, v63, 0x3ed4b147, v90
	v_mul_f32_e32 v106, 0x3ed4b147, v53
	v_add_f32_e32 v92, v92, v95
	v_add_f32_e32 v91, v93, v91
	;; [unrolled: 1-line block ×3, first 2 shown]
	s_delay_alu instid0(VALU_DEP_4) | instskip(SKIP_4) | instid1(VALU_DEP_4)
	v_dual_add_f32 v94, v100, v99 :: v_dual_fmamk_f32 v95, v54, 0xbf68dda4, v106
	v_fma_f32 v90, 0x3ed4b147, v63, -v90
	v_fmac_f32_e32 v106, 0x3f68dda4, v54
	v_mul_f32_e32 v100, 0x3f575c64, v53
	v_mul_f32_e32 v99, 0xbf0a6770, v103
	v_dual_mul_f32 v103, 0xbf4178ce, v103 :: v_dual_add_f32 v90, v90, v96
	s_delay_alu instid0(VALU_DEP_4) | instskip(NEXT) | instid1(VALU_DEP_4)
	v_add_f32_e32 v96, v106, v98
	v_fmamk_f32 v98, v54, 0x3f0a6770, v100
	v_dual_fmac_f32 v100, 0xbf0a6770, v54 :: v_dual_add_f32 v95, v95, v97
	v_fmamk_f32 v97, v63, 0x3f575c64, v99
	v_fma_f32 v99, 0x3f575c64, v63, -v99
	s_delay_alu instid0(VALU_DEP_4) | instskip(SKIP_3) | instid1(VALU_DEP_3)
	v_add_f32_e32 v38, v98, v38
	v_dual_fmamk_f32 v98, v63, 0xbf27a4f4, v103 :: v_dual_mul_f32 v53, 0xbf27a4f4, v53
	v_dual_add_f32 v89, v100, v89 :: v_dual_sub_f32 v100, v58, v51
	v_add_f32_e32 v51, v58, v51
	v_dual_add_f32 v99, v99, v101 :: v_dual_add_f32 v98, v98, v102
	s_delay_alu instid0(VALU_DEP_4) | instskip(NEXT) | instid1(VALU_DEP_4)
	v_dual_fmamk_f32 v101, v54, 0x3f4178ce, v53 :: v_dual_add_f32 v102, v64, v56
	v_mul_f32_e32 v58, 0xbf4178ce, v100
	v_fma_f32 v63, 0xbf27a4f4, v63, -v103
	v_dual_fmac_f32 v53, 0xbf4178ce, v54 :: v_dual_sub_f32 v54, v64, v56
	v_mul_f32_e32 v56, 0xbf27a4f4, v51
	s_delay_alu instid0(VALU_DEP_3) | instskip(NEXT) | instid1(VALU_DEP_3)
	v_dual_fmamk_f32 v64, v102, 0xbf27a4f4, v58 :: v_dual_add_f32 v35, v63, v35
	v_add_f32_e32 v37, v53, v37
	v_mul_f32_e32 v63, 0x3f7d64f0, v100
	s_delay_alu instid0(VALU_DEP_4) | instskip(NEXT) | instid1(VALU_DEP_4)
	v_fmamk_f32 v53, v54, 0x3f4178ce, v56
	v_dual_fmac_f32 v56, 0xbf4178ce, v54 :: v_dual_add_f32 v55, v64, v55
	v_fma_f32 v58, 0xbf27a4f4, v102, -v58
	s_delay_alu instid0(VALU_DEP_4) | instskip(SKIP_1) | instid1(VALU_DEP_4)
	v_fmamk_f32 v64, v102, 0xbe11bafb, v63
	v_fma_f32 v63, 0xbe11bafb, v102, -v63
	v_dual_add_f32 v56, v56, v59 :: v_dual_mul_f32 v59, 0xbf0a6770, v100
	v_add_f32_e32 v39, v53, v39
	s_delay_alu instid0(VALU_DEP_4) | instskip(SKIP_1) | instid1(VALU_DEP_4)
	v_add_f32_e32 v57, v64, v57
	v_mul_f32_e32 v53, 0xbe11bafb, v51
	v_dual_add_f32 v63, v63, v91 :: v_dual_fmamk_f32 v64, v102, 0x3f575c64, v59
	v_fma_f32 v59, 0x3f575c64, v102, -v59
	v_dual_mul_f32 v91, 0xbe903f40, v100 :: v_dual_add_f32 v58, v58, v65
	s_delay_alu instid0(VALU_DEP_3) | instskip(NEXT) | instid1(VALU_DEP_3)
	v_dual_fmamk_f32 v65, v54, 0xbf7d64f0, v53 :: v_dual_add_f32 v64, v64, v94
	v_dual_mul_f32 v94, 0xbf75a155, v51 :: v_dual_add_f32 v59, v59, v90
	v_fmac_f32_e32 v53, 0x3f7d64f0, v54
	s_delay_alu instid0(VALU_DEP_4) | instskip(NEXT) | instid1(VALU_DEP_3)
	v_dual_add_f32 v62, v101, v62 :: v_dual_fmamk_f32 v101, v102, 0xbf75a155, v91
	v_fmamk_f32 v90, v54, 0x3e903f40, v94
	v_fma_f32 v91, 0xbf75a155, v102, -v91
	v_dual_fmac_f32 v94, 0xbe903f40, v54 :: v_dual_add_f32 v105, v109, v105
	s_delay_alu instid0(VALU_DEP_3) | instskip(SKIP_1) | instid1(VALU_DEP_4)
	v_dual_add_f32 v53, v53, v93 :: v_dual_add_f32 v90, v90, v38
	v_mul_f32_e32 v38, 0x3ed4b147, v51
	v_add_f32_e32 v91, v91, v99
	s_delay_alu instid0(VALU_DEP_4) | instskip(SKIP_1) | instid1(VALU_DEP_4)
	v_add_f32_e32 v89, v94, v89
	v_dual_add_f32 v97, v97, v105 :: v_dual_sub_f32 v108, v27, v8
	v_fmamk_f32 v99, v54, 0xbf68dda4, v38
	v_dual_add_f32 v65, v65, v92 :: v_dual_mul_f32 v92, 0x3f575c64, v51
	v_fmac_f32_e32 v38, 0x3f68dda4, v54
	s_delay_alu instid0(VALU_DEP_3) | instskip(SKIP_1) | instid1(VALU_DEP_4)
	v_dual_mul_f32 v109, 0xbf4178ce, v108 :: v_dual_add_f32 v62, v99, v62
	v_add_f32_e32 v99, v50, v52
	v_fmamk_f32 v93, v54, 0x3f0a6770, v92
	v_fmac_f32_e32 v92, 0xbf0a6770, v54
	ds_store_2addr_b32 v69, v2, v10 offset1:51
	ds_store_2addr_b32 v69, v14, v20 offset0:102 offset1:153
	ds_store_2addr_b32 v69, v22, v24 offset0:204 offset1:255
	;; [unrolled: 1-line block ×4, first 2 shown]
	v_lshl_add_u32 v2, v66, 2, 0
	v_mul_f32_e32 v54, 0xbf75a155, v99
	v_dual_add_f32 v93, v93, v95 :: v_dual_add_f32 v92, v92, v96
	v_dual_mul_f32 v96, 0x3f68dda4, v100 :: v_dual_add_f32 v95, v101, v97
	v_dual_sub_f32 v97, v50, v52 :: v_dual_mul_f32 v100, 0x3f575c64, v99
	s_delay_alu instid0(VALU_DEP_2) | instskip(SKIP_2) | instid1(VALU_DEP_3)
	v_fmamk_f32 v51, v102, 0x3ed4b147, v96
	v_fma_f32 v50, 0x3ed4b147, v102, -v96
	v_add_f32_e32 v96, v38, v37
	v_add_f32_e32 v94, v51, v98
	v_dual_add_f32 v98, v61, v60 :: v_dual_mul_f32 v51, 0xbe903f40, v97
	s_delay_alu instid0(VALU_DEP_4) | instskip(NEXT) | instid1(VALU_DEP_2)
	v_dual_sub_f32 v60, v61, v60 :: v_dual_add_f32 v61, v50, v35
	v_fmamk_f32 v52, v98, 0xbf75a155, v51
	s_delay_alu instid0(VALU_DEP_2) | instskip(SKIP_2) | instid1(VALU_DEP_4)
	v_fmamk_f32 v37, v60, 0x3e903f40, v54
	v_fmac_f32_e32 v54, 0xbe903f40, v60
	v_fma_f32 v38, 0xbf75a155, v98, -v51
	v_add_f32_e32 v35, v52, v55
	v_mul_f32_e32 v55, 0x3f0a6770, v97
	v_add_f32_e32 v51, v37, v39
	v_dual_fmamk_f32 v39, v60, 0xbf0a6770, v100 :: v_dual_add_f32 v50, v54, v56
	v_mul_f32_e32 v54, 0xbf4178ce, v97
	s_delay_alu instid0(VALU_DEP_4) | instskip(SKIP_2) | instid1(VALU_DEP_3)
	v_fmamk_f32 v52, v98, 0x3f575c64, v55
	v_dual_mul_f32 v56, 0xbf27a4f4, v99 :: v_dual_add_f32 v37, v38, v58
	v_fmac_f32_e32 v100, 0x3f0a6770, v60
	v_add_f32_e32 v38, v52, v57
	v_add_f32_e32 v52, v39, v65
	v_fma_f32 v39, 0x3f575c64, v98, -v55
	v_fmamk_f32 v55, v98, 0xbf27a4f4, v54
	v_fmamk_f32 v57, v60, 0x3f4178ce, v56
	v_fma_f32 v65, 0xbf27a4f4, v98, -v54
	s_delay_alu instid0(VALU_DEP_4) | instskip(NEXT) | instid1(VALU_DEP_4)
	v_dual_fmac_f32 v56, 0xbf4178ce, v60 :: v_dual_add_f32 v39, v39, v63
	v_add_f32_e32 v58, v55, v64
	s_delay_alu instid0(VALU_DEP_4) | instskip(NEXT) | instid1(VALU_DEP_4)
	v_add_f32_e32 v54, v57, v93
	v_add_f32_e32 v57, v65, v59
	v_mul_f32_e32 v59, 0x3f68dda4, v97
	v_dual_add_f32 v64, v32, v33 :: v_dual_add_f32 v63, v30, v88
	v_add_f32_e32 v55, v56, v92
	v_mul_f32_e32 v65, 0x3ed4b147, v99
	s_delay_alu instid0(VALU_DEP_3) | instskip(NEXT) | instid1(VALU_DEP_4)
	v_dual_fmamk_f32 v93, v98, 0x3ed4b147, v59 :: v_dual_add_f32 v64, v64, v27
	v_add_f32_e32 v56, v63, v67
	v_fma_f32 v59, 0x3ed4b147, v98, -v59
	s_delay_alu instid0(VALU_DEP_3) | instskip(NEXT) | instid1(VALU_DEP_4)
	v_dual_fmamk_f32 v92, v60, 0xbf68dda4, v65 :: v_dual_add_f32 v63, v93, v95
	v_add_f32_e32 v95, v64, v15
	s_delay_alu instid0(VALU_DEP_4) | instskip(NEXT) | instid1(VALU_DEP_4)
	v_add_f32_e32 v93, v56, v31
	v_dual_add_f32 v64, v59, v91 :: v_dual_fmac_f32 v65, 0x3f68dda4, v60
	s_delay_alu instid0(VALU_DEP_3) | instskip(NEXT) | instid1(VALU_DEP_3)
	v_add_f32_e32 v91, v95, v11
	v_add_f32_e32 v59, v93, v25
	v_mul_f32_e32 v93, 0xbe11bafb, v99
	s_delay_alu instid0(VALU_DEP_3) | instskip(NEXT) | instid1(VALU_DEP_3)
	v_add_f32_e32 v91, v91, v1
	v_add_f32_e32 v95, v59, v17
	;; [unrolled: 1-line block ×3, first 2 shown]
	s_delay_alu instid0(VALU_DEP_4) | instskip(SKIP_1) | instid1(VALU_DEP_2)
	v_fmamk_f32 v89, v60, 0x3f7d64f0, v93
	v_fmac_f32_e32 v93, 0xbf7d64f0, v60
	v_dual_add_f32 v91, v91, v3 :: v_dual_add_f32 v60, v89, v62
	s_delay_alu instid0(VALU_DEP_1) | instskip(NEXT) | instid1(VALU_DEP_1)
	v_add_f32_e32 v91, v91, v4
	v_add_f32_e32 v91, v91, v6
	s_delay_alu instid0(VALU_DEP_1) | instskip(SKIP_3) | instid1(VALU_DEP_3)
	v_add_f32_e32 v91, v91, v8
	v_add_f32_e32 v8, v27, v8
	v_dual_add_f32 v27, v67, v9 :: v_dual_add_f32 v56, v92, v90
	v_mul_f32_e32 v90, 0xbf7d64f0, v97
	v_mul_f32_e32 v110, 0xbf75a155, v8
	s_delay_alu instid0(VALU_DEP_2) | instskip(SKIP_1) | instid1(VALU_DEP_2)
	v_fmamk_f32 v92, v98, 0xbe11bafb, v90
	v_fma_f32 v90, 0xbe11bafb, v98, -v90
	v_dual_add_f32 v65, v92, v94 :: v_dual_add_f32 v92, v95, v13
	s_delay_alu instid0(VALU_DEP_2) | instskip(SKIP_2) | instid1(VALU_DEP_4)
	v_add_f32_e32 v89, v90, v61
	v_sub_f32_e32 v90, v33, v21
	v_add_f32_e32 v33, v33, v21
	v_add_f32_e32 v62, v92, v5
	s_delay_alu instid0(VALU_DEP_3) | instskip(NEXT) | instid1(VALU_DEP_3)
	v_dual_add_f32 v92, v88, v16 :: v_dual_mul_f32 v103, 0xbf4178ce, v90
	v_mul_f32_e32 v97, 0x3ed4b147, v33
	v_mul_f32_e32 v104, 0xbf27a4f4, v33
	s_delay_alu instid0(VALU_DEP_4) | instskip(SKIP_3) | instid1(VALU_DEP_4)
	v_add_f32_e32 v62, v62, v7
	v_mul_f32_e32 v94, 0x3f575c64, v33
	v_fmamk_f32 v105, v92, 0xbf27a4f4, v103
	v_fma_f32 v103, 0xbf27a4f4, v92, -v103
	v_add_f32_e32 v62, v62, v9
	v_dual_sub_f32 v9, v67, v9 :: v_dual_sub_f32 v88, v88, v16
	s_delay_alu instid0(VALU_DEP_3) | instskip(NEXT) | instid1(VALU_DEP_3)
	v_dual_add_f32 v103, v30, v103 :: v_dual_mul_f32 v98, 0xbf7d64f0, v90
	v_add_f32_e32 v16, v62, v16
	v_dual_add_f32 v62, v91, v21 :: v_dual_mul_f32 v21, 0xbf68dda4, v90
	s_delay_alu instid0(VALU_DEP_4)
	v_fmamk_f32 v99, v88, 0x3f68dda4, v97
	v_fmac_f32_e32 v97, 0xbf68dda4, v88
	v_fmamk_f32 v106, v88, 0x3f4178ce, v104
	v_fmac_f32_e32 v104, 0xbf4178ce, v88
	v_fmamk_f32 v91, v88, 0x3f0a6770, v94
	v_add_f32_e32 v61, v93, v96
	v_mul_f32_e32 v93, 0xbf0a6770, v90
	v_fmamk_f32 v101, v92, 0xbe11bafb, v98
	v_add_f32_e32 v97, v32, v97
	v_fmamk_f32 v96, v92, 0x3ed4b147, v21
	v_fma_f32 v21, 0x3ed4b147, v92, -v21
	v_fma_f32 v98, 0xbe11bafb, v92, -v98
	v_add_f32_e32 v105, v30, v105
	v_add_f32_e32 v53, v100, v53
	v_mul_f32_e32 v100, 0xbe11bafb, v33
	v_dual_mul_f32 v33, 0xbf75a155, v33 :: v_dual_add_f32 v104, v32, v104
	v_mul_f32_e32 v90, 0xbe903f40, v90
	v_fmamk_f32 v95, v92, 0x3f575c64, v93
	v_fma_f32 v93, 0x3f575c64, v92, -v93
	v_dual_add_f32 v21, v30, v21 :: v_dual_fmac_f32 v94, 0xbf0a6770, v88
	v_add_f32_e32 v98, v30, v98
	v_fmamk_f32 v102, v88, 0x3f7d64f0, v100
	v_fmac_f32_e32 v100, 0xbf7d64f0, v88
	v_fmamk_f32 v107, v92, 0xbf75a155, v90
	v_fma_f32 v90, 0xbf75a155, v92, -v90
	v_fmamk_f32 v92, v88, 0x3e903f40, v33
	v_fmac_f32_e32 v33, 0xbe903f40, v88
	v_mul_f32_e32 v67, 0x3ed4b147, v8
	v_add_f32_e32 v91, v32, v91
	v_add_f32_e32 v94, v32, v94
	;; [unrolled: 1-line block ×7, first 2 shown]
	v_dual_add_f32 v32, v32, v33 :: v_dual_fmamk_f32 v33, v9, 0x3f68dda4, v67
	v_fmac_f32_e32 v67, 0xbf68dda4, v9
	v_add_f32_e32 v95, v30, v95
	v_add_f32_e32 v93, v30, v93
	;; [unrolled: 1-line block ×4, first 2 shown]
	v_dual_add_f32 v67, v67, v94 :: v_dual_mul_f32 v88, 0xbf68dda4, v108
	v_add_f32_e32 v107, v30, v107
	v_dual_add_f32 v30, v30, v90 :: v_dual_add_f32 v33, v33, v91
	v_fmamk_f32 v91, v27, 0xbf27a4f4, v109
	s_delay_alu instid0(VALU_DEP_4)
	v_fmamk_f32 v90, v27, 0x3ed4b147, v88
	v_fma_f32 v88, 0x3ed4b147, v27, -v88
	ds_store_2addr_b32 v71, v12, v36 offset0:126 offset1:177
	ds_store_2addr_b32 v72, v35, v38 offset0:100 offset1:151
	;; [unrolled: 1-line block ×4, first 2 shown]
	v_add_nc_u32_e32 v58, 0x1000, v2
	ds_store_2addr_b32 v73, v64, v57 offset0:150 offset1:201
	v_dual_add_f32 v90, v90, v95 :: v_dual_mul_f32 v95, 0xbf27a4f4, v8
	v_dual_add_f32 v88, v88, v93 :: v_dual_mul_f32 v93, 0x3e903f40, v108
	v_add_nc_u32_e32 v57, 0x1400, v2
	v_add_nc_u32_e32 v63, 0x1600, v2
	s_delay_alu instid0(VALU_DEP_4)
	v_fmamk_f32 v94, v9, 0x3f4178ce, v95
	v_fmac_f32_e32 v95, 0xbf4178ce, v9
	ds_store_2addr_b32 v76, v39, v37 offset0:124 offset1:175
	v_dual_add_f32 v94, v94, v99 :: v_dual_add_f32 v95, v95, v97
	v_fmamk_f32 v97, v9, 0xbe903f40, v110
	v_mul_f32_e32 v99, 0x3f7d64f0, v108
	s_delay_alu instid0(VALU_DEP_2)
	v_dual_mul_f32 v108, 0x3f0a6770, v108 :: v_dual_add_f32 v97, v97, v102
	v_add_f32_e32 v91, v91, v96
	v_fma_f32 v96, 0xbf27a4f4, v27, -v109
	v_fmamk_f32 v109, v27, 0xbf75a155, v93
	v_fma_f32 v93, 0xbf75a155, v27, -v93
	v_fmamk_f32 v102, v27, 0xbe11bafb, v99
	v_fma_f32 v99, 0xbe11bafb, v27, -v99
	v_add_f32_e32 v21, v96, v21
	v_dual_add_f32 v96, v109, v101 :: v_dual_mul_f32 v101, 0xbe11bafb, v8
	s_delay_alu instid0(VALU_DEP_4) | instskip(SKIP_1) | instid1(VALU_DEP_3)
	v_dual_add_f32 v102, v102, v105 :: v_dual_fmamk_f32 v105, v27, 0x3f575c64, v108
	v_add_f32_e32 v93, v93, v98
	v_dual_add_f32 v99, v99, v103 :: v_dual_fmamk_f32 v98, v9, 0xbf7d64f0, v101
	v_fmac_f32_e32 v101, 0x3f7d64f0, v9
	v_sub_f32_e32 v103, v15, v6
	v_add_f32_e32 v6, v15, v6
	v_fma_f32 v15, 0x3f575c64, v27, -v108
	s_delay_alu instid0(VALU_DEP_4)
	v_add_f32_e32 v101, v101, v104
	v_add_f32_e32 v104, v105, v107
	v_dual_mul_f32 v107, 0xbf7d64f0, v103 :: v_dual_add_f32 v98, v98, v106
	v_add_f32_e32 v106, v31, v7
	v_sub_f32_e32 v7, v31, v7
	v_mul_f32_e32 v27, 0xbe11bafb, v6
	v_add_f32_e32 v15, v15, v30
	s_delay_alu instid0(VALU_DEP_2) | instskip(SKIP_2) | instid1(VALU_DEP_2)
	v_fmamk_f32 v30, v7, 0x3f7d64f0, v27
	v_fmac_f32_e32 v27, 0xbf7d64f0, v7
	v_mul_f32_e32 v8, 0x3f575c64, v8
	v_dual_add_f32 v30, v30, v33 :: v_dual_add_f32 v27, v27, v67
	s_delay_alu instid0(VALU_DEP_2) | instskip(SKIP_1) | instid1(VALU_DEP_1)
	v_fmamk_f32 v105, v9, 0xbf0a6770, v8
	v_fmac_f32_e32 v8, 0x3f0a6770, v9
	v_add_f32_e32 v8, v8, v32
	v_mul_f32_e32 v32, 0x3e903f40, v103
	s_delay_alu instid0(VALU_DEP_1) | instskip(SKIP_3) | instid1(VALU_DEP_4)
	v_fmamk_f32 v33, v106, 0xbf75a155, v32
	v_dual_add_f32 v31, v105, v92 :: v_dual_mul_f32 v92, 0xbf75a155, v6
	v_fma_f32 v32, 0xbf75a155, v106, -v32
	v_mul_f32_e32 v105, 0x3f575c64, v6
	v_add_f32_e32 v33, v33, v91
	s_delay_alu instid0(VALU_DEP_4) | instskip(NEXT) | instid1(VALU_DEP_4)
	v_fmamk_f32 v67, v7, 0xbe903f40, v92
	v_dual_fmac_f32 v92, 0x3e903f40, v7 :: v_dual_add_f32 v21, v32, v21
	s_delay_alu instid0(VALU_DEP_2) | instskip(SKIP_1) | instid1(VALU_DEP_3)
	v_add_f32_e32 v67, v67, v94
	v_mul_f32_e32 v94, 0x3ed4b147, v6
	v_add_f32_e32 v32, v92, v95
	v_mul_f32_e32 v92, 0xbf0a6770, v103
	v_mul_f32_e32 v6, 0xbf27a4f4, v6
	s_delay_alu instid0(VALU_DEP_4) | instskip(NEXT) | instid1(VALU_DEP_1)
	v_fmamk_f32 v95, v7, 0xbf68dda4, v94
	v_dual_fmac_f32 v94, 0x3f68dda4, v7 :: v_dual_add_f32 v95, v95, v97
	v_fmac_f32_e32 v110, 0x3e903f40, v9
	v_fmamk_f32 v9, v106, 0xbe11bafb, v107
	s_delay_alu instid0(VALU_DEP_2) | instskip(NEXT) | instid1(VALU_DEP_2)
	v_dual_mul_f32 v97, 0xbf4178ce, v103 :: v_dual_add_f32 v100, v110, v100
	v_add_f32_e32 v9, v9, v90
	v_fma_f32 v90, 0xbe11bafb, v106, -v107
	s_delay_alu instid0(VALU_DEP_1) | instskip(SKIP_1) | instid1(VALU_DEP_1)
	v_add_f32_e32 v88, v90, v88
	v_mul_f32_e32 v90, 0x3f68dda4, v103
	v_fmamk_f32 v91, v106, 0x3ed4b147, v90
	v_fma_f32 v90, 0x3ed4b147, v106, -v90
	s_delay_alu instid0(VALU_DEP_2) | instskip(NEXT) | instid1(VALU_DEP_2)
	v_dual_add_f32 v91, v91, v96 :: v_dual_fmamk_f32 v96, v106, 0x3f575c64, v92
	v_add_f32_e32 v90, v90, v93
	v_dual_add_f32 v93, v94, v100 :: v_dual_fmamk_f32 v100, v7, 0x3f4178ce, v6
	v_fma_f32 v92, 0x3f575c64, v106, -v92
	v_fmac_f32_e32 v6, 0xbf4178ce, v7
	s_delay_alu instid0(VALU_DEP_3) | instskip(SKIP_3) | instid1(VALU_DEP_1)
	v_dual_add_f32 v31, v100, v31 :: v_dual_add_f32 v100, v25, v5
	v_dual_sub_f32 v5, v25, v5 :: v_dual_add_f32 v94, v96, v102
	v_fmamk_f32 v96, v7, 0x3f0a6770, v105
	v_fmac_f32_e32 v105, 0xbf0a6770, v7
	v_dual_add_f32 v92, v92, v99 :: v_dual_add_f32 v99, v105, v101
	v_sub_f32_e32 v101, v11, v4
	s_delay_alu instid0(VALU_DEP_1) | instskip(NEXT) | instid1(VALU_DEP_1)
	v_dual_add_f32 v4, v11, v4 :: v_dual_mul_f32 v11, 0xbf4178ce, v101
	v_dual_add_f32 v96, v96, v98 :: v_dual_mul_f32 v7, 0xbf27a4f4, v4
	s_delay_alu instid0(VALU_DEP_2) | instskip(SKIP_3) | instid1(VALU_DEP_4)
	v_fmamk_f32 v25, v100, 0xbf27a4f4, v11
	v_fmamk_f32 v98, v106, 0xbf27a4f4, v97
	v_fma_f32 v97, 0xbf27a4f4, v106, -v97
	v_fma_f32 v11, 0xbf27a4f4, v100, -v11
	v_add_f32_e32 v9, v25, v9
	s_delay_alu instid0(VALU_DEP_3)
	v_add_f32_e32 v15, v97, v15
	v_dual_fmamk_f32 v97, v5, 0x3f4178ce, v7 :: v_dual_add_f32 v6, v6, v8
	v_mul_f32_e32 v8, 0x3f7d64f0, v101
	v_fmac_f32_e32 v7, 0xbf4178ce, v5
	v_add_f32_e32 v11, v11, v88
	v_mul_f32_e32 v88, 0x3f575c64, v4
	s_delay_alu instid0(VALU_DEP_4) | instskip(SKIP_3) | instid1(VALU_DEP_4)
	v_dual_fmamk_f32 v25, v100, 0xbe11bafb, v8 :: v_dual_add_f32 v30, v97, v30
	v_mul_f32_e32 v97, 0xbe11bafb, v4
	v_fma_f32 v8, 0xbe11bafb, v100, -v8
	v_add_f32_e32 v7, v7, v27
	v_add_f32_e32 v25, v25, v33
	v_mul_f32_e32 v27, 0xbf0a6770, v101
	v_fmamk_f32 v33, v5, 0xbf7d64f0, v97
	v_fmac_f32_e32 v97, 0x3f7d64f0, v5
	v_add_f32_e32 v8, v8, v21
	s_delay_alu instid0(VALU_DEP_3) | instskip(NEXT) | instid1(VALU_DEP_3)
	v_dual_fmamk_f32 v102, v100, 0x3f575c64, v27 :: v_dual_add_f32 v33, v33, v67
	v_add_f32_e32 v21, v97, v32
	v_fmamk_f32 v32, v5, 0x3f0a6770, v88
	s_delay_alu instid0(VALU_DEP_3) | instskip(SKIP_2) | instid1(VALU_DEP_4)
	v_dual_fmac_f32 v88, 0xbf0a6770, v5 :: v_dual_add_f32 v67, v102, v91
	v_mul_f32_e32 v91, 0xbe903f40, v101
	v_fma_f32 v27, 0x3f575c64, v100, -v27
	v_dual_add_f32 v32, v32, v95 :: v_dual_mul_f32 v95, 0xbf75a155, v4
	s_delay_alu instid0(VALU_DEP_4) | instskip(NEXT) | instid1(VALU_DEP_4)
	v_add_f32_e32 v88, v88, v93
	v_fmamk_f32 v97, v100, 0xbf75a155, v91
	s_delay_alu instid0(VALU_DEP_4) | instskip(NEXT) | instid1(VALU_DEP_4)
	v_dual_add_f32 v27, v27, v90 :: v_dual_mul_f32 v90, 0x3f68dda4, v101
	v_fmamk_f32 v93, v5, 0x3e903f40, v95
	v_fma_f32 v91, 0xbf75a155, v100, -v91
	s_delay_alu instid0(VALU_DEP_4) | instskip(NEXT) | instid1(VALU_DEP_4)
	v_dual_add_f32 v94, v97, v94 :: v_dual_fmac_f32 v95, 0xbe903f40, v5
	v_fmamk_f32 v97, v100, 0x3ed4b147, v90
	s_delay_alu instid0(VALU_DEP_4)
	v_add_f32_e32 v93, v93, v96
	v_sub_f32_e32 v96, v1, v3
	v_add_f32_e32 v1, v1, v3
	v_dual_add_f32 v3, v17, v13 :: v_dual_add_f32 v98, v98, v104
	v_mul_f32_e32 v4, 0x3ed4b147, v4
	v_add_f32_e32 v91, v91, v92
	s_delay_alu instid0(VALU_DEP_3) | instskip(NEXT) | instid1(VALU_DEP_3)
	v_dual_add_f32 v92, v95, v99 :: v_dual_add_f32 v95, v97, v98
	v_fmamk_f32 v97, v5, 0xbf68dda4, v4
	v_mul_f32_e32 v98, 0xbe903f40, v96
	v_fmac_f32_e32 v4, 0x3f68dda4, v5
	v_sub_f32_e32 v5, v17, v13
	v_mul_f32_e32 v13, 0xbf75a155, v1
	v_add_f32_e32 v17, v97, v31
	s_delay_alu instid0(VALU_DEP_4) | instskip(NEXT) | instid1(VALU_DEP_3)
	v_dual_fmamk_f32 v31, v3, 0xbf75a155, v98 :: v_dual_add_f32 v4, v4, v6
	v_fmamk_f32 v6, v5, 0x3e903f40, v13
	v_fmac_f32_e32 v13, 0xbe903f40, v5
	s_delay_alu instid0(VALU_DEP_3) | instskip(SKIP_1) | instid1(VALU_DEP_4)
	v_add_f32_e32 v9, v31, v9
	v_fma_f32 v31, 0xbf75a155, v3, -v98
	v_dual_add_f32 v97, v6, v30 :: v_dual_mul_f32 v30, 0x3f575c64, v1
	s_delay_alu instid0(VALU_DEP_4) | instskip(NEXT) | instid1(VALU_DEP_3)
	v_dual_add_f32 v98, v13, v7 :: v_dual_mul_f32 v7, 0xbf4178ce, v96
	v_add_f32_e32 v11, v31, v11
	s_delay_alu instid0(VALU_DEP_3) | instskip(SKIP_1) | instid1(VALU_DEP_4)
	v_fmamk_f32 v13, v5, 0xbf0a6770, v30
	v_fmac_f32_e32 v30, 0x3f0a6770, v5
	v_fmamk_f32 v31, v3, 0xbf27a4f4, v7
	v_fma_f32 v7, 0xbf27a4f4, v3, -v7
	s_delay_alu instid0(VALU_DEP_4) | instskip(NEXT) | instid1(VALU_DEP_3)
	v_add_f32_e32 v99, v13, v33
	v_add_f32_e32 v13, v31, v67
	v_fma_f32 v90, 0x3ed4b147, v100, -v90
	v_dual_add_f32 v100, v30, v21 :: v_dual_mul_f32 v31, 0xbf7d64f0, v96
	v_dual_mul_f32 v30, 0x3ed4b147, v1 :: v_dual_add_f32 v7, v7, v27
	s_delay_alu instid0(VALU_DEP_3) | instskip(NEXT) | instid1(VALU_DEP_2)
	v_dual_add_f32 v15, v90, v15 :: v_dual_mul_f32 v90, 0x3f0a6770, v96
	v_fmamk_f32 v27, v5, 0xbf68dda4, v30
	v_fmac_f32_e32 v30, 0x3f68dda4, v5
	s_delay_alu instid0(VALU_DEP_3) | instskip(NEXT) | instid1(VALU_DEP_1)
	v_fmamk_f32 v6, v3, 0x3f575c64, v90
	v_add_f32_e32 v6, v6, v25
	v_fma_f32 v25, 0x3f575c64, v3, -v90
	v_mul_f32_e32 v90, 0xbf27a4f4, v1
	s_delay_alu instid0(VALU_DEP_2) | instskip(NEXT) | instid1(VALU_DEP_2)
	v_dual_mul_f32 v1, 0xbe11bafb, v1 :: v_dual_add_f32 v8, v25, v8
	v_fmamk_f32 v21, v5, 0x3f4178ce, v90
	v_mul_f32_e32 v25, 0x3f68dda4, v96
	s_delay_alu instid0(VALU_DEP_2) | instskip(NEXT) | instid1(VALU_DEP_4)
	v_add_f32_e32 v67, v21, v32
	v_fmamk_f32 v32, v5, 0x3f7d64f0, v1
	v_fmac_f32_e32 v1, 0xbf7d64f0, v5
	v_fmac_f32_e32 v90, 0xbf4178ce, v5
	v_fmamk_f32 v21, v3, 0x3ed4b147, v25
	v_fma_f32 v25, 0x3ed4b147, v3, -v25
	s_delay_alu instid0(VALU_DEP_4) | instskip(NEXT) | instid1(VALU_DEP_4)
	v_add_f32_e32 v1, v1, v4
	v_add_f32_e32 v88, v90, v88
	;; [unrolled: 1-line block ×3, first 2 shown]
	v_fmamk_f32 v27, v3, 0xbe11bafb, v31
	v_fma_f32 v3, 0xbe11bafb, v3, -v31
	v_add_f32_e32 v21, v21, v94
	v_add_f32_e32 v25, v25, v91
	;; [unrolled: 1-line block ×4, first 2 shown]
	v_dual_add_f32 v3, v3, v15 :: v_dual_add_f32 v92, v32, v17
	ds_store_2addr_b32 v58, v16, v9 offset0:98 offset1:149
	ds_store_2addr_b32 v58, v6, v13 offset0:200 offset1:251
	;; [unrolled: 1-line block ×5, first 2 shown]
	ds_store_b32 v2, v11 offset:6528
	global_wb scope:SCOPE_SE
	s_wait_dscnt 0x0
	s_barrier_signal -1
	s_barrier_wait -1
	global_inv scope:SCOPE_SE
	ds_load_2addr_b32 v[4:5], v69 offset1:51
	ds_load_2addr_b32 v[6:7], v71 offset0:126 offset1:177
	ds_load_2addr_b32 v[8:9], v75 offset0:98 offset1:149
	;; [unrolled: 1-line block ×15, first 2 shown]
	ds_load_b32 v27, v69 offset:6528
	global_wb scope:SCOPE_SE
	s_wait_dscnt 0x0
	s_barrier_signal -1
	s_barrier_wait -1
	global_inv scope:SCOPE_SE
	ds_store_2addr_b32 v69, v0, v40 offset1:51
	ds_store_2addr_b32 v69, v41, v43 offset0:102 offset1:153
	ds_store_2addr_b32 v69, v45, v47 offset0:204 offset1:255
	;; [unrolled: 1-line block ×15, first 2 shown]
	ds_store_b32 v2, v98 offset:6528
	global_wb scope:SCOPE_SE
	s_wait_dscnt 0x0
	s_barrier_signal -1
	s_barrier_wait -1
	global_inv scope:SCOPE_SE
	s_and_saveexec_b32 s0, vcc_lo
	s_cbranch_execz .LBB0_19
; %bb.18:
	v_dual_mov_b32 v41, 0 :: v_dual_lshlrev_b32 v40, 1, v80
	v_add_nc_u32_e32 v130, 0x462, v70
	v_add_nc_u32_e32 v26, 0x600, v69
	ds_load_b32 v140, v69 offset:6528
	v_add_nc_u32_e32 v132, 0x1400, v69
	v_lshlrev_b64_e32 v[0:1], 3, v[40:41]
	v_lshlrev_b32_e32 v40, 1, v82
	ds_load_2addr_b32 v[65:66], v69 offset0:204 offset1:255
	v_add_nc_u32_e32 v135, 0x800, v69
	ds_load_2addr_b32 v[100:101], v69 offset0:102 offset1:153
	ds_load_2addr_b32 v[102:103], v69 offset1:51
	v_lshlrev_b64_e32 v[42:43], 3, v[40:41]
	v_add_co_u32 v0, vcc_lo, s4, v0
	s_wait_alu 0xfffd
	v_add_co_ci_u32_e32 v1, vcc_lo, s5, v1, vcc_lo
	v_lshlrev_b32_e32 v40, 1, v83
	s_delay_alu instid0(VALU_DEP_4)
	v_add_co_u32 v42, vcc_lo, s4, v42
	s_wait_alu 0xfffd
	v_add_co_ci_u32_e32 v43, vcc_lo, s5, v43, vcc_lo
	global_load_b128 v[0:3], v[0:1], off offset:4352
	v_mad_co_u64_u32 v[124:125], null, s8, v130, 0
	global_load_b128 v[45:48], v[42:43], off offset:4352
	v_lshlrev_b64_e32 v[42:43], 3, v[40:41]
	v_lshlrev_b32_e32 v40, 1, v85
	v_add_nc_u32_e32 v141, 0x1000, v69
	v_add_nc_u32_e32 v137, 0x495, v70
	v_mad_co_u64_u32 v[104:105], null, s8, v87, 0
	v_add_co_u32 v42, vcc_lo, s4, v42
	s_wait_alu 0xfffd
	v_add_co_ci_u32_e32 v43, vcc_lo, s5, v43, vcc_lo
	v_mad_co_u64_u32 v[128:129], null, s8, v137, 0
	global_load_b128 v[49:52], v[42:43], off offset:4352
	v_lshlrev_b64_e32 v[42:43], 3, v[40:41]
	v_lshlrev_b32_e32 v40, 1, v86
	v_add_nc_u32_e32 v136, 0x264, v70
	v_add_nc_u32_e32 v116, 0x400, v69
	;; [unrolled: 1-line block ×3, first 2 shown]
	v_add_co_u32 v42, vcc_lo, s4, v42
	s_wait_alu 0xfffd
	v_add_co_ci_u32_e32 v43, vcc_lo, s5, v43, vcc_lo
	v_mad_co_u64_u32 v[126:127], null, s8, v136, 0
	global_load_b128 v[53:56], v[42:43], off offset:4352
	v_lshlrev_b64_e32 v[42:43], 3, v[40:41]
	v_lshlrev_b32_e32 v40, 1, v79
	s_delay_alu instid0(VALU_DEP_2) | instskip(SKIP_1) | instid1(VALU_DEP_3)
	v_add_co_u32 v42, vcc_lo, s4, v42
	s_wait_alu 0xfffd
	v_add_co_ci_u32_e32 v43, vcc_lo, s5, v43, vcc_lo
	global_load_b128 v[57:60], v[42:43], off offset:4352
	v_lshlrev_b64_e32 v[42:43], 3, v[40:41]
	v_lshlrev_b32_e32 v40, 1, v81
	s_delay_alu instid0(VALU_DEP_2) | instskip(SKIP_1) | instid1(VALU_DEP_3)
	v_add_co_u32 v42, vcc_lo, s4, v42
	s_wait_alu 0xfffd
	v_add_co_ci_u32_e32 v43, vcc_lo, s5, v43, vcc_lo
	;; [unrolled: 7-line block ×5, first 2 shown]
	global_load_b128 v[88:91], v[42:43], off offset:4352
	v_lshlrev_b64_e32 v[42:43], 3, v[40:41]
	v_lshlrev_b32_e32 v40, 1, v70
	s_delay_alu instid0(VALU_DEP_1) | instskip(NEXT) | instid1(VALU_DEP_3)
	v_lshlrev_b64_e32 v[40:41], 3, v[40:41]
	v_add_co_u32 v42, vcc_lo, s4, v42
	s_wait_alu 0xfffd
	s_delay_alu instid0(VALU_DEP_4) | instskip(NEXT) | instid1(VALU_DEP_3)
	v_add_co_ci_u32_e32 v43, vcc_lo, s5, v43, vcc_lo
	v_add_co_u32 v40, vcc_lo, s4, v40
	global_load_b128 v[92:95], v[42:43], off offset:4352
	s_wait_alu 0xfffd
	v_add_co_ci_u32_e32 v41, vcc_lo, s5, v41, vcc_lo
	v_add_nc_u32_e32 v42, 0xe00, v69
	v_add_co_u32 v43, vcc_lo, s10, v28
	global_load_b128 v[96:99], v[40:41], off offset:4352
	v_mad_co_u64_u32 v[40:41], null, s8, v70, 0
	v_add_nc_u32_e32 v67, 0x1600, v69
	v_add_nc_u32_e32 v69, 0x231, v70
	s_wait_alu 0xfffd
	v_add_co_ci_u32_e32 v44, vcc_lo, s11, v29, vcc_lo
	v_mad_co_u64_u32 v[28:29], null, s8, v68, 0
	s_delay_alu instid0(VALU_DEP_3)
	v_mad_co_u64_u32 v[122:123], null, s8, v69, 0
	ds_load_2addr_b32 v[106:107], v26 offset0:126 offset1:177
	ds_load_2addr_b32 v[108:109], v42 offset0:124 offset1:175
	;; [unrolled: 1-line block ×8, first 2 shown]
	v_mov_b32_e32 v26, v41
	v_mad_co_u64_u32 v[67:68], null, s9, v68, v[29:30]
	s_delay_alu instid0(VALU_DEP_2)
	v_mad_co_u64_u32 v[41:42], null, s9, v70, v[26:27]
	v_mov_b32_e32 v26, v123
	v_mov_b32_e32 v42, v125
	ds_load_2addr_b32 v[133:134], v135 offset0:202 offset1:253
	v_mov_b32_e32 v29, v67
	v_mad_co_u64_u32 v[68:69], null, s9, v69, v[26:27]
	v_mov_b32_e32 v26, v127
	v_mad_co_u64_u32 v[130:131], null, s9, v130, v[42:43]
	v_mov_b32_e32 v42, v129
	v_lshlrev_b64_e32 v[40:41], 3, v[40:41]
	v_lshlrev_b64_e32 v[28:29], 3, v[28:29]
	v_mov_b32_e32 v123, v68
	v_mad_co_u64_u32 v[67:68], null, s9, v136, v[26:27]
	ds_load_2addr_b32 v[131:132], v132 offset0:46 offset1:97
	v_mov_b32_e32 v125, v130
	ds_load_2addr_b32 v[68:69], v141 offset0:200 offset1:251
	ds_load_2addr_b32 v[129:130], v135 offset0:100 offset1:151
	v_mad_co_u64_u32 v[135:136], null, s9, v137, v[42:43]
	v_add_co_u32 v136, vcc_lo, v43, v40
	v_lshlrev_b64_e32 v[122:123], 3, v[122:123]
	s_wait_alu 0xfffd
	v_add_co_ci_u32_e32 v137, vcc_lo, v44, v41, vcc_lo
	v_add_co_u32 v138, vcc_lo, v43, v28
	s_wait_alu 0xfffd
	v_add_co_ci_u32_e32 v139, vcc_lo, v44, v29, vcc_lo
	v_lshlrev_b64_e32 v[28:29], 3, v[124:125]
	v_add_co_u32 v122, vcc_lo, v43, v122
	s_wait_alu 0xfffd
	v_add_co_ci_u32_e32 v123, vcc_lo, v44, v123, vcc_lo
	ds_load_2addr_b32 v[124:125], v141 offset0:98 offset1:149
	v_mov_b32_e32 v127, v67
	s_wait_loadcnt 0xa
	v_mul_f32_e32 v26, v27, v3
	s_wait_dscnt 0x10
	v_dual_mul_f32 v40, v140, v3 :: v_dual_mul_f32 v3, v21, v1
	s_wait_dscnt 0xb
	v_mul_f32_e32 v1, v109, v1
	v_fma_f32 v26, v2, v140, -v26
	s_delay_alu instid0(VALU_DEP_3) | instskip(SKIP_1) | instid1(VALU_DEP_4)
	v_fmac_f32_e32 v40, v27, v2
	v_add_co_u32 v140, vcc_lo, v43, v28
	v_fmac_f32_e32 v1, v21, v0
	v_fma_f32 v2, v0, v109, -v3
	s_wait_alu 0xfffd
	v_add_co_ci_u32_e32 v141, vcc_lo, v44, v29, vcc_lo
	s_wait_loadcnt 0x9
	v_mul_f32_e32 v21, v108, v46
	v_dual_sub_f32 v29, v1, v40 :: v_dual_mul_f32 v0, v20, v46
	v_mul_f32_e32 v3, v17, v48
	s_wait_dscnt 0xa
	s_delay_alu instid0(VALU_DEP_3)
	v_dual_mul_f32 v28, v111, v48 :: v_dual_fmac_f32 v21, v20, v45
	v_add_f32_e32 v20, v106, v2
	v_fma_f32 v27, v45, v108, -v0
	v_add_f32_e32 v41, v1, v40
	v_fma_f32 v45, v47, v111, -v3
	s_wait_loadcnt_dscnt 0x808
	v_dual_fmac_f32 v28, v17, v47 :: v_dual_mul_f32 v47, v115, v50
	v_dual_add_f32 v3, v20, v26 :: v_dual_add_f32 v20, v113, v27
	v_add_f32_e32 v0, v2, v26
	s_delay_alu instid0(VALU_DEP_3) | instskip(SKIP_1) | instid1(VALU_DEP_3)
	v_dual_sub_f32 v42, v2, v26 :: v_dual_fmac_f32 v47, v25, v49
	v_dual_add_f32 v2, v6, v1 :: v_dual_mul_f32 v17, v25, v50
	v_fma_f32 v1, -0.5, v0, v106
	v_fma_f32 v0, -0.5, v41, v6
	v_mul_f32_e32 v6, v110, v52
	v_dual_mul_f32 v46, v16, v52 :: v_dual_add_f32 v41, v45, v27
	v_add_f32_e32 v48, v28, v21
	v_add_f32_e32 v26, v39, v21
	s_delay_alu instid0(VALU_DEP_4)
	v_fmac_f32_e32 v6, v16, v51
	v_sub_f32_e32 v50, v27, v45
	v_fma_f32 v52, v49, v115, -v17
	s_wait_loadcnt 0x7
	v_mul_f32_e32 v25, v24, v54
	v_mul_f32_e32 v49, v37, v56
	v_fmamk_f32 v17, v29, 0xbf5db3d7, v1
	v_add_f32_e32 v27, v45, v20
	v_fma_f32 v20, -0.5, v48, v39
	v_dual_sub_f32 v39, v47, v6 :: v_dual_add_f32 v2, v2, v40
	v_fma_f32 v40, v51, v110, -v46
	v_dual_sub_f32 v46, v21, v28 :: v_dual_mul_f32 v51, v114, v54
	s_wait_dscnt 0x6
	v_mul_f32_e32 v54, v119, v56
	v_fma_f32 v21, -0.5, v41, v113
	v_add_f32_e32 v41, v47, v6
	v_add_f32_e32 v47, v38, v47
	s_wait_loadcnt 0x6
	v_mul_f32_e32 v56, v118, v60
	v_add_f32_e32 v45, v112, v52
	v_fma_f32 v48, v53, v114, -v25
	v_fma_f32 v49, v55, v119, -v49
	v_fmac_f32_e32 v51, v24, v53
	v_fmac_f32_e32 v56, v36, v59
	;; [unrolled: 1-line block ×3, first 2 shown]
	s_wait_dscnt 0x5
	v_dual_mul_f32 v55, v121, v58 :: v_dual_fmamk_f32 v16, v42, 0x3f5db3d7, v0
	v_fmac_f32_e32 v0, 0xbf5db3d7, v42
	v_dual_sub_f32 v42, v52, v40 :: v_dual_add_f32 v37, v47, v6
	v_dual_fmamk_f32 v25, v46, 0xbf5db3d7, v21 :: v_dual_add_f32 v26, v28, v26
	v_add_f32_e32 v28, v52, v40
	v_dual_mul_f32 v52, v35, v58 :: v_dual_fmac_f32 v1, 0x3f5db3d7, v29
	v_add_f32_e32 v47, v117, v48
	v_dual_fmac_f32 v55, v35, v57 :: v_dual_fmamk_f32 v24, v50, 0x3f5db3d7, v20
	v_fmac_f32_e32 v20, 0xbf5db3d7, v50
	v_fma_f32 v29, -0.5, v28, v112
	v_fma_f32 v28, -0.5, v41, v38
	v_fma_f32 v50, v57, v121, -v52
	s_wait_loadcnt 0x5
	v_mul_f32_e32 v57, v120, v62
	v_mul_f32_e32 v53, v36, v60
	v_dual_fmac_f32 v21, 0x3f5db3d7, v46 :: v_dual_sub_f32 v46, v48, v49
	v_add_f32_e32 v6, v48, v49
	s_delay_alu instid0(VALU_DEP_4)
	v_fmac_f32_e32 v57, v34, v61
	v_fmamk_f32 v35, v42, 0x3f5db3d7, v28
	v_fmac_f32_e32 v28, 0xbf5db3d7, v42
	v_add_f32_e32 v42, v47, v49
	v_sub_f32_e32 v49, v55, v56
	v_dual_add_f32 v41, v51, v54 :: v_dual_add_f32 v38, v45, v40
	v_sub_f32_e32 v45, v51, v54
	v_fmamk_f32 v36, v39, 0xbf5db3d7, v29
	v_fmac_f32_e32 v29, 0x3f5db3d7, v39
	s_delay_alu instid0(VALU_DEP_4)
	v_fma_f32 v39, -0.5, v41, v33
	v_add_f32_e32 v48, v33, v51
	v_fma_f32 v51, v59, v118, -v53
	s_wait_loadcnt_dscnt 0x404
	v_mul_f32_e32 v59, v134, v72
	v_dual_mul_f32 v52, v34, v62 :: v_dual_mul_f32 v53, v31, v64
	s_wait_dscnt 0x3
	v_mul_f32_e32 v58, v132, v64
	s_wait_loadcnt 0x3
	v_mul_f32_e32 v62, v15, v78
	v_fmac_f32_e32 v59, v23, v71
	v_mul_f32_e32 v60, v131, v74
	v_add_f32_e32 v41, v48, v54
	v_fma_f32 v53, v63, v132, -v53
	v_dual_fmac_f32 v58, v31, v63 :: v_dual_fmamk_f32 v33, v46, 0x3f5db3d7, v39
	v_fma_f32 v40, -0.5, v6, v117
	v_mul_f32_e32 v63, v133, v76
	s_wait_dscnt 0x2
	v_fma_f32 v62, v77, v69, -v62
	v_fmac_f32_e32 v60, v30, v73
	v_add_f32_e32 v48, v116, v50
	v_dual_fmamk_f32 v34, v45, 0xbf5db3d7, v40 :: v_dual_fmac_f32 v63, v22, v75
	s_wait_loadcnt_dscnt 0x201
	v_dual_mul_f32 v64, v69, v78 :: v_dual_mul_f32 v67, v130, v89
	s_delay_alu instid0(VALU_DEP_3) | instskip(SKIP_2) | instid1(VALU_DEP_4)
	v_add_f32_e32 v48, v48, v51
	v_dual_fmac_f32 v40, 0x3f5db3d7, v45 :: v_dual_mul_f32 v69, v68, v91
	v_mul_f32_e32 v31, v23, v72
	v_dual_fmac_f32 v67, v13, v88 :: v_dual_fmac_f32 v64, v15, v77
	v_dual_mul_f32 v15, v13, v89 :: v_dual_sub_f32 v54, v50, v51
	v_dual_add_f32 v6, v50, v51 :: v_dual_add_f32 v51, v57, v58
	v_dual_add_f32 v47, v55, v56 :: v_dual_add_f32 v50, v32, v55
	v_mul_f32_e32 v55, v30, v74
	v_mul_f32_e32 v23, v22, v76
	v_fmac_f32_e32 v69, v14, v90
	s_delay_alu instid0(VALU_DEP_4)
	v_fma_f32 v45, -0.5, v47, v32
	v_add_f32_e32 v47, v50, v56
	v_fmac_f32_e32 v39, 0xbf5db3d7, v46
	v_dual_sub_f32 v32, v57, v58 :: v_dual_add_f32 v57, v19, v57
	v_fma_f32 v52, v61, v120, -v52
	v_fmamk_f32 v30, v54, 0x3f5db3d7, v45
	v_fmac_f32_e32 v45, 0xbf5db3d7, v54
	v_fma_f32 v46, -0.5, v6, v116
	v_fma_f32 v61, v71, v134, -v31
	v_sub_f32_e32 v56, v52, v53
	v_fma_f32 v55, v73, v131, -v55
	v_fma_f32 v15, v88, v130, -v15
	v_fmamk_f32 v31, v49, 0xbf5db3d7, v46
	v_fmac_f32_e32 v46, 0x3f5db3d7, v49
	v_fma_f32 v49, -0.5, v51, v19
	v_dual_add_f32 v6, v52, v53 :: v_dual_add_f32 v51, v57, v58
	v_dual_sub_f32 v57, v59, v60 :: v_dual_sub_f32 v58, v61, v55
	s_delay_alu instid0(VALU_DEP_3) | instskip(SKIP_1) | instid1(VALU_DEP_4)
	v_fmamk_f32 v22, v56, 0x3f5db3d7, v49
	v_fmac_f32_e32 v49, 0xbf5db3d7, v56
	v_fma_f32 v50, -0.5, v6, v66
	v_add_f32_e32 v52, v66, v52
	v_add_f32_e32 v54, v65, v61
	s_wait_loadcnt_dscnt 0x100
	v_mul_f32_e32 v71, v125, v95
	s_wait_loadcnt 0x0
	v_dual_mul_f32 v73, v8, v99 :: v_dual_mul_f32 v74, v107, v97
	v_dual_add_f32 v52, v52, v53 :: v_dual_add_f32 v53, v59, v60
	v_add_f32_e32 v59, v18, v59
	v_fmac_f32_e32 v71, v9, v94
	s_delay_alu instid0(VALU_DEP_3)
	v_fma_f32 v18, -0.5, v53, v18
	v_add_f32_e32 v6, v61, v55
	v_fma_f32 v61, v75, v133, -v23
	v_add_f32_e32 v53, v59, v60
	v_fmamk_f32 v23, v32, 0xbf5db3d7, v50
	v_fmamk_f32 v13, v58, 0x3f5db3d7, v18
	v_fma_f32 v19, -0.5, v6, v65
	v_add_f32_e32 v6, v61, v62
	v_sub_f32_e32 v59, v61, v62
	v_dual_add_f32 v60, v101, v61 :: v_dual_add_f32 v61, v11, v63
	v_dual_mul_f32 v66, v14, v91 :: v_dual_mul_f32 v65, v12, v93
	v_fmac_f32_e32 v50, 0x3f5db3d7, v32
	v_add_f32_e32 v54, v54, v55
	v_fmamk_f32 v14, v57, 0xbf5db3d7, v19
	v_fmac_f32_e32 v19, 0x3f5db3d7, v57
	v_add_f32_e32 v57, v61, v64
	v_sub_f32_e32 v61, v67, v69
	v_fma_f32 v65, v92, v129, -v65
	v_fmac_f32_e32 v18, 0xbf5db3d7, v58
	v_add_f32_e32 v58, v60, v62
	v_dual_add_f32 v62, v67, v69 :: v_dual_add_f32 v67, v10, v67
	v_dual_sub_f32 v32, v63, v64 :: v_dual_mul_f32 v75, v124, v99
	v_add_f32_e32 v55, v63, v64
	v_fma_f32 v63, v90, v68, -v66
	s_delay_alu instid0(VALU_DEP_4) | instskip(NEXT) | instid1(VALU_DEP_4)
	v_dual_mul_f32 v66, v9, v95 :: v_dual_add_f32 v9, v67, v69
	v_dual_mul_f32 v68, v129, v93 :: v_dual_fmac_f32 v75, v8, v98
	v_fma_f32 v56, -0.5, v6, v101
	v_fma_f32 v55, -0.5, v55, v11
	v_sub_f32_e32 v64, v15, v63
	v_fma_f32 v66, v94, v125, -v66
	v_add_f32_e32 v6, v15, v63
	v_add_f32_e32 v15, v100, v15
	v_dual_fmac_f32 v68, v12, v92 :: v_dual_fmamk_f32 v11, v59, 0x3f5db3d7, v55
	v_fmac_f32_e32 v55, 0xbf5db3d7, v59
	v_sub_f32_e32 v69, v65, v66
	v_fma_f32 v59, -0.5, v62, v10
	v_mul_f32_e32 v72, v7, v97
	v_dual_add_f32 v10, v15, v63 :: v_dual_add_f32 v15, v65, v66
	v_fma_f32 v60, -0.5, v6, v100
	v_add_f32_e32 v63, v68, v71
	v_add_f32_e32 v67, v5, v68
	v_fmac_f32_e32 v74, v7, v96
	v_fmamk_f32 v12, v32, 0xbf5db3d7, v56
	v_dual_fmac_f32 v56, 0x3f5db3d7, v32 :: v_dual_add_f32 v65, v103, v65
	v_fmamk_f32 v7, v61, 0xbf5db3d7, v60
	v_fmac_f32_e32 v60, 0x3f5db3d7, v61
	v_fma_f32 v62, -0.5, v15, v103
	v_fma_f32 v61, -0.5, v63, v5
	v_add_f32_e32 v63, v67, v71
	v_sub_f32_e32 v32, v68, v71
	v_add_f32_e32 v15, v74, v75
	v_add_f32_e32 v71, v4, v74
	v_fmamk_f32 v6, v64, 0x3f5db3d7, v59
	v_fmac_f32_e32 v59, 0xbf5db3d7, v64
	v_fma_f32 v68, v96, v107, -v72
	v_fma_f32 v72, v98, v124, -v73
	v_add_f32_e32 v64, v65, v66
	v_fma_f32 v4, -0.5, v15, v4
	v_mov_b32_e32 v129, v135
	v_add_f32_e32 v67, v102, v68
	v_add_f32_e32 v5, v68, v72
	v_sub_f32_e32 v65, v68, v72
	s_delay_alu instid0(VALU_DEP_3) | instskip(NEXT) | instid1(VALU_DEP_3)
	v_dual_add_f32 v68, v67, v72 :: v_dual_add_nc_u32 v15, 0x4c8, v70
	v_fma_f32 v5, -0.5, v5, v102
	v_add_f32_e32 v67, v71, v75
	s_delay_alu instid0(VALU_DEP_4)
	v_fmamk_f32 v71, v65, 0x3f5db3d7, v4
	v_fmac_f32_e32 v4, 0xbf5db3d7, v65
	v_dual_fmamk_f32 v65, v69, 0x3f5db3d7, v61 :: v_dual_sub_f32 v8, v74, v75
	v_fmac_f32_e32 v61, 0xbf5db3d7, v69
	v_mad_co_u64_u32 v[73:74], null, s8, v15, 0
	v_fmamk_f32 v66, v32, 0xbf5db3d7, v62
	s_delay_alu instid0(VALU_DEP_4)
	v_fmamk_f32 v72, v8, 0xbf5db3d7, v5
	v_fmac_f32_e32 v5, 0x3f5db3d7, v8
	s_clause 0x3
	global_store_b64 v[136:137], v[67:68], off
	global_store_b64 v[122:123], v[4:5], off
	;; [unrolled: 1-line block ×4, first 2 shown]
	v_mov_b32_e32 v4, v105
	v_add_nc_u32_e32 v8, 0x297, v70
	v_lshlrev_b64_e32 v[63:64], 3, v[126:127]
	v_lshlrev_b64_e32 v[71:72], 3, v[128:129]
	v_mad_co_u64_u32 v[75:76], null, s8, v84, 0
	v_mad_co_u64_u32 v[4:5], null, s9, v87, v[4:5]
	;; [unrolled: 1-line block ×3, first 2 shown]
	v_fmac_f32_e32 v62, 0x3f5db3d7, v32
	v_add_co_u32 v63, vcc_lo, v43, v63
	s_wait_alu 0xfffd
	v_add_co_ci_u32_e32 v64, vcc_lo, v44, v64, vcc_lo
	s_delay_alu instid0(VALU_DEP_4) | instskip(SKIP_3) | instid1(VALU_DEP_3)
	v_dual_mov_b32 v105, v4 :: v_dual_mov_b32 v4, v68
	v_add_co_u32 v71, vcc_lo, v43, v71
	s_wait_alu 0xfffd
	v_add_co_ci_u32_e32 v72, vcc_lo, v44, v72, vcc_lo
	v_lshlrev_b64_e32 v[68:69], 3, v[104:105]
	v_mad_co_u64_u32 v[4:5], null, s9, v8, v[4:5]
	v_mov_b32_e32 v5, v74
	s_delay_alu instid0(VALU_DEP_3) | instskip(SKIP_1) | instid1(VALU_DEP_4)
	v_add_co_u32 v77, vcc_lo, v43, v68
	s_wait_alu 0xfffd
	v_add_co_ci_u32_e32 v78, vcc_lo, v44, v69, vcc_lo
	s_delay_alu instid0(VALU_DEP_4)
	v_mov_b32_e32 v68, v4
	s_clause 0x2
	global_store_b64 v[63:64], v[61:62], off
	global_store_b64 v[71:72], v[65:66], off
	;; [unrolled: 1-line block ×3, first 2 shown]
	v_mov_b32_e32 v4, v76
	v_add_nc_u32_e32 v10, 0x2ca, v70
	v_mad_co_u64_u32 v[87:88], null, s9, v15, v[5:6]
	v_add_nc_u32_e32 v15, 0x4fb, v70
	s_delay_alu instid0(VALU_DEP_4) | instskip(NEXT) | instid1(VALU_DEP_4)
	v_mad_co_u64_u32 v[4:5], null, s9, v84, v[4:5]
	v_mad_co_u64_u32 v[61:62], null, s8, v10, 0
	v_lshlrev_b64_e32 v[8:9], 3, v[67:68]
	v_mov_b32_e32 v74, v87
	v_mad_co_u64_u32 v[65:66], null, s8, v15, 0
	v_mov_b32_e32 v76, v4
	v_mad_co_u64_u32 v[71:72], null, s8, v81, 0
	v_mov_b32_e32 v4, v62
	v_lshlrev_b64_e32 v[63:64], 3, v[73:74]
	v_add_co_u32 v8, vcc_lo, v43, v8
	v_lshlrev_b64_e32 v[67:68], 3, v[75:76]
	s_delay_alu instid0(VALU_DEP_4)
	v_mad_co_u64_u32 v[4:5], null, s9, v10, v[4:5]
	s_wait_alu 0xfffd
	v_add_co_ci_u32_e32 v9, vcc_lo, v44, v9, vcc_lo
	v_add_co_u32 v63, vcc_lo, v43, v63
	s_wait_alu 0xfffd
	v_add_co_ci_u32_e32 v64, vcc_lo, v44, v64, vcc_lo
	v_mov_b32_e32 v5, v66
	v_add_co_u32 v66, vcc_lo, v43, v67
	v_mov_b32_e32 v62, v4
	s_wait_alu 0xfffd
	v_add_co_ci_u32_e32 v67, vcc_lo, v44, v68, vcc_lo
	v_mad_co_u64_u32 v[68:69], null, s9, v15, v[5:6]
	s_clause 0x2
	global_store_b64 v[8:9], v[59:60], off
	global_store_b64 v[63:64], v[6:7], off
	;; [unrolled: 1-line block ×3, first 2 shown]
	v_lshlrev_b64_e32 v[5:6], 3, v[61:62]
	v_mov_b32_e32 v4, v72
	v_add_nc_u32_e32 v10, 0x2fd, v70
	v_dual_mov_b32 v66, v68 :: v_dual_add_nc_u32 v15, 0x52e, v70
	s_delay_alu instid0(VALU_DEP_3) | instskip(SKIP_1) | instid1(VALU_DEP_4)
	v_mad_co_u64_u32 v[7:8], null, s9, v81, v[4:5]
	v_add_co_u32 v4, vcc_lo, v43, v5
	v_mad_co_u64_u32 v[8:9], null, s8, v10, 0
	s_wait_alu 0xfffd
	v_add_co_ci_u32_e32 v5, vcc_lo, v44, v6, vcc_lo
	s_delay_alu instid0(VALU_DEP_4) | instskip(SKIP_3) | instid1(VALU_DEP_4)
	v_mov_b32_e32 v72, v7
	v_lshlrev_b64_e32 v[6:7], 3, v[65:66]
	v_mad_co_u64_u32 v[57:58], null, s8, v15, 0
	v_mad_co_u64_u32 v[9:10], null, s9, v10, v[9:10]
	v_lshlrev_b64_e32 v[59:60], 3, v[71:72]
	s_delay_alu instid0(VALU_DEP_4) | instskip(SKIP_3) | instid1(VALU_DEP_4)
	v_add_co_u32 v6, vcc_lo, v43, v6
	s_wait_alu 0xfffd
	v_add_co_ci_u32_e32 v7, vcc_lo, v44, v7, vcc_lo
	v_mov_b32_e32 v10, v58
	v_add_co_u32 v58, vcc_lo, v43, v59
	s_wait_alu 0xfffd
	v_add_co_ci_u32_e32 v59, vcc_lo, v44, v60, vcc_lo
	s_clause 0x2
	global_store_b64 v[4:5], v[55:56], off
	global_store_b64 v[6:7], v[11:12], off
	;; [unrolled: 1-line block ×3, first 2 shown]
	v_add_nc_u32_e32 v12, 0x330, v70
	v_lshlrev_b64_e32 v[4:5], 3, v[8:9]
	v_mad_co_u64_u32 v[6:7], null, s8, v79, 0
	v_mad_co_u64_u32 v[60:61], null, s9, v15, v[10:11]
	s_delay_alu instid0(VALU_DEP_4)
	v_mad_co_u64_u32 v[8:9], null, s8, v12, 0
	v_add_nc_u32_e32 v15, 0x561, v70
	v_add_co_u32 v4, vcc_lo, v43, v4
	s_wait_alu 0xfffd
	v_add_co_ci_u32_e32 v5, vcc_lo, v44, v5, vcc_lo
	v_mov_b32_e32 v58, v60
	v_mad_co_u64_u32 v[53:54], null, s9, v79, v[7:8]
	v_mad_co_u64_u32 v[54:55], null, s8, v15, 0
	s_delay_alu instid0(VALU_DEP_3) | instskip(SKIP_4) | instid1(VALU_DEP_3)
	v_lshlrev_b64_e32 v[10:11], 3, v[57:58]
	global_store_b64 v[4:5], v[18:19], off
	v_mov_b32_e32 v7, v53
	v_mad_co_u64_u32 v[56:57], null, s9, v12, v[9:10]
	v_add_co_u32 v10, vcc_lo, v43, v10
	v_lshlrev_b64_e32 v[5:6], 3, v[6:7]
	s_wait_alu 0xfffd
	v_add_co_ci_u32_e32 v11, vcc_lo, v44, v11, vcc_lo
	s_delay_alu instid0(VALU_DEP_4)
	v_dual_mov_b32 v4, v55 :: v_dual_mov_b32 v9, v56
	global_store_b64 v[10:11], v[13:14], off
	v_mad_co_u64_u32 v[10:11], null, s9, v15, v[4:5]
	v_lshlrev_b64_e32 v[7:8], 3, v[8:9]
	v_mad_co_u64_u32 v[11:12], null, s8, v86, 0
	v_add_co_u32 v4, vcc_lo, v43, v5
	s_wait_alu 0xfffd
	v_add_co_ci_u32_e32 v5, vcc_lo, v44, v6, vcc_lo
	v_mov_b32_e32 v55, v10
	v_add_co_u32 v6, vcc_lo, v43, v7
	s_wait_alu 0xfffd
	v_add_co_ci_u32_e32 v7, vcc_lo, v44, v8, vcc_lo
	s_delay_alu instid0(VALU_DEP_3) | instskip(SKIP_1) | instid1(VALU_DEP_1)
	v_lshlrev_b64_e32 v[9:10], 3, v[54:55]
	v_dual_mov_b32 v8, v12 :: v_dual_add_nc_u32 v15, 0x363, v70
	v_mad_co_u64_u32 v[18:19], null, s9, v86, v[8:9]
	v_add_nc_u32_e32 v19, 0x594, v70
	s_delay_alu instid0(VALU_DEP_3) | instskip(SKIP_1) | instid1(VALU_DEP_3)
	v_mad_co_u64_u32 v[13:14], null, s8, v15, 0
	v_add_co_u32 v8, vcc_lo, v43, v9
	v_mad_co_u64_u32 v[53:54], null, s8, v19, 0
	s_wait_alu 0xfffd
	v_add_co_ci_u32_e32 v9, vcc_lo, v44, v10, vcc_lo
	s_clause 0x2
	global_store_b64 v[4:5], v[51:52], off
	global_store_b64 v[6:7], v[49:50], off
	;; [unrolled: 1-line block ×3, first 2 shown]
	v_mad_co_u64_u32 v[7:8], null, s8, v85, 0
	v_mov_b32_e32 v10, v14
	v_mov_b32_e32 v6, v54
	;; [unrolled: 1-line block ×3, first 2 shown]
	v_add_nc_u32_e32 v18, 0x396, v70
	v_mad_co_u64_u32 v[22:23], null, s8, v83, 0
	v_mad_co_u64_u32 v[14:15], null, s9, v15, v[10:11]
	;; [unrolled: 1-line block ×3, first 2 shown]
	v_mov_b32_e32 v6, v8
	v_lshlrev_b64_e32 v[4:5], 3, v[11:12]
	v_add_nc_u32_e32 v19, 0x5c7, v70
	v_lshlrev_b64_e32 v[10:11], 3, v[13:14]
	v_mad_co_u64_u32 v[12:13], null, s8, v18, 0
	v_mov_b32_e32 v54, v9
	v_mad_co_u64_u32 v[8:9], null, s9, v85, v[6:7]
	v_add_co_u32 v4, vcc_lo, v43, v4
	s_wait_alu 0xfffd
	v_add_co_ci_u32_e32 v5, vcc_lo, v44, v5, vcc_lo
	v_add_co_u32 v9, vcc_lo, v43, v10
	s_delay_alu instid0(VALU_DEP_4)
	v_lshlrev_b64_e32 v[7:8], 3, v[7:8]
	s_wait_alu 0xfffd
	v_add_co_ci_u32_e32 v10, vcc_lo, v44, v11, vcc_lo
	v_mov_b32_e32 v6, v13
	global_store_b64 v[4:5], v[47:48], off
	v_lshlrev_b64_e32 v[4:5], 3, v[53:54]
	v_mad_co_u64_u32 v[14:15], null, s8, v19, 0
	global_store_b64 v[9:10], v[45:46], off
	v_mad_co_u64_u32 v[10:11], null, s9, v18, v[6:7]
	v_add_co_u32 v4, vcc_lo, v43, v4
	s_wait_alu 0xfffd
	v_add_co_ci_u32_e32 v5, vcc_lo, v44, v5, vcc_lo
	v_add_co_u32 v6, vcc_lo, v43, v7
	v_mov_b32_e32 v9, v15
	s_wait_alu 0xfffd
	v_add_co_ci_u32_e32 v7, vcc_lo, v44, v8, vcc_lo
	v_mov_b32_e32 v13, v10
	global_store_b64 v[4:5], v[30:31], off
	v_mad_co_u64_u32 v[18:19], null, s9, v19, v[9:10]
	v_mul_hi_u32 v10, 0xd347a4bd, v82
	global_store_b64 v[6:7], v[41:42], off
	v_lshlrev_b64_e32 v[5:6], 3, v[12:13]
	v_dual_mov_b32 v4, v23 :: v_dual_mov_b32 v15, v18
	v_add_nc_u32_e32 v18, 0x5fa, v70
	s_delay_alu instid0(VALU_DEP_2) | instskip(SKIP_4) | instid1(VALU_DEP_3)
	v_mad_co_u64_u32 v[7:8], null, s9, v83, v[4:5]
	v_sub_nc_u32_e32 v8, v82, v10
	v_add_co_u32 v4, vcc_lo, v43, v5
	s_wait_alu 0xfffd
	v_add_co_ci_u32_e32 v5, vcc_lo, v44, v6, vcc_lo
	v_lshrrev_b32_e32 v6, 1, v8
	v_lshlrev_b64_e32 v[8:9], 3, v[14:15]
	v_dual_mov_b32 v23, v7 :: v_dual_add_nc_u32 v14, 0x3c9, v70
	s_delay_alu instid0(VALU_DEP_3) | instskip(SKIP_1) | instid1(VALU_DEP_3)
	v_add_nc_u32_e32 v12, v6, v10
	v_mad_co_u64_u32 v[10:11], null, s8, v18, 0
	v_mad_co_u64_u32 v[6:7], null, s8, v14, 0
	s_delay_alu instid0(VALU_DEP_3)
	v_lshrrev_b32_e32 v15, 9, v12
	v_add_co_u32 v8, vcc_lo, v43, v8
	v_lshlrev_b64_e32 v[12:13], 3, v[22:23]
	s_wait_alu 0xfffd
	v_add_co_ci_u32_e32 v9, vcc_lo, v44, v9, vcc_lo
	v_mad_u32_u24 v30, 0x462, v15, v82
	v_mad_co_u64_u32 v[14:15], null, s9, v14, v[7:8]
	s_delay_alu instid0(VALU_DEP_4) | instskip(NEXT) | instid1(VALU_DEP_3)
	v_mad_co_u64_u32 v[18:19], null, s9, v18, v[11:12]
	v_mad_co_u64_u32 v[22:23], null, s8, v30, 0
	v_mul_hi_u32 v15, 0xd347a4bd, v80
	v_add_co_u32 v12, vcc_lo, v43, v12
	v_mov_b32_e32 v7, v14
	s_wait_alu 0xfffd
	v_add_co_ci_u32_e32 v13, vcc_lo, v44, v13, vcc_lo
	s_clause 0x1
	global_store_b64 v[4:5], v[39:40], off
	global_store_b64 v[8:9], v[33:34], off
	v_mov_b32_e32 v11, v18
	v_lshlrev_b64_e32 v[5:6], 3, v[6:7]
	v_mov_b32_e32 v4, v23
	global_store_b64 v[12:13], v[37:38], off
	v_sub_nc_u32_e32 v12, v80, v15
	v_lshlrev_b64_e32 v[7:8], 3, v[10:11]
	v_add_nc_u32_e32 v14, 0x462, v30
	v_mad_co_u64_u32 v[9:10], null, s9, v30, v[4:5]
	s_delay_alu instid0(VALU_DEP_4) | instskip(SKIP_3) | instid1(VALU_DEP_3)
	v_lshrrev_b32_e32 v10, 1, v12
	v_add_co_u32 v4, vcc_lo, v43, v5
	s_wait_alu 0xfffd
	v_add_co_ci_u32_e32 v5, vcc_lo, v44, v6, vcc_lo
	v_add_nc_u32_e32 v10, v10, v15
	v_add_co_u32 v6, vcc_lo, v43, v7
	v_add_nc_u32_e32 v12, 0x231, v30
	s_wait_alu 0xfffd
	v_add_co_ci_u32_e32 v7, vcc_lo, v44, v8, vcc_lo
	v_lshrrev_b32_e32 v10, 9, v10
	v_mov_b32_e32 v23, v9
	v_mad_co_u64_u32 v[8:9], null, s8, v12, 0
	global_store_b64 v[4:5], v[28:29], off
	v_mad_u32_u24 v18, 0x462, v10, v80
	global_store_b64 v[6:7], v[35:36], off
	v_mad_co_u64_u32 v[6:7], null, s8, v14, 0
	v_lshlrev_b64_e32 v[4:5], 3, v[22:23]
	v_mad_co_u64_u32 v[10:11], null, s8, v18, 0
	v_add_nc_u32_e32 v28, 0x231, v18
	v_add_nc_u32_e32 v29, 0x462, v18
	s_delay_alu instid0(VALU_DEP_4)
	v_add_co_u32 v4, vcc_lo, v43, v4
	s_wait_alu 0xfffd
	v_add_co_ci_u32_e32 v5, vcc_lo, v44, v5, vcc_lo
	v_mad_co_u64_u32 v[12:13], null, s9, v12, v[9:10]
	v_mad_co_u64_u32 v[13:14], null, s9, v14, v[7:8]
	v_mad_co_u64_u32 v[14:15], null, s8, v28, 0
	v_mov_b32_e32 v7, v11
	v_mad_co_u64_u32 v[22:23], null, s8, v29, 0
	global_store_b64 v[4:5], v[26:27], off
	v_mov_b32_e32 v9, v12
	v_mad_co_u64_u32 v[18:19], null, s9, v18, v[7:8]
	v_dual_mov_b32 v4, v15 :: v_dual_mov_b32 v7, v13
	s_delay_alu instid0(VALU_DEP_3) | instskip(NEXT) | instid1(VALU_DEP_2)
	v_lshlrev_b64_e32 v[8:9], 3, v[8:9]
	v_mad_co_u64_u32 v[4:5], null, s9, v28, v[4:5]
	s_delay_alu instid0(VALU_DEP_3)
	v_lshlrev_b64_e32 v[6:7], 3, v[6:7]
	v_mov_b32_e32 v5, v23
	v_mov_b32_e32 v11, v18
	v_add_co_u32 v8, vcc_lo, v43, v8
	s_wait_alu 0xfffd
	v_add_co_ci_u32_e32 v9, vcc_lo, v44, v9, vcc_lo
	v_mov_b32_e32 v15, v4
	v_mad_co_u64_u32 v[12:13], null, s9, v29, v[5:6]
	v_lshlrev_b64_e32 v[10:11], 3, v[10:11]
	v_add_co_u32 v4, vcc_lo, v43, v6
	s_wait_alu 0xfffd
	v_add_co_ci_u32_e32 v5, vcc_lo, v44, v7, vcc_lo
	v_lshlrev_b64_e32 v[6:7], 3, v[14:15]
	v_mov_b32_e32 v23, v12
	v_add_co_u32 v10, vcc_lo, v43, v10
	s_wait_alu 0xfffd
	v_add_co_ci_u32_e32 v11, vcc_lo, v44, v11, vcc_lo
	s_delay_alu instid0(VALU_DEP_3) | instskip(SKIP_3) | instid1(VALU_DEP_3)
	v_lshlrev_b64_e32 v[12:13], 3, v[22:23]
	v_add_co_u32 v6, vcc_lo, v43, v6
	s_wait_alu 0xfffd
	v_add_co_ci_u32_e32 v7, vcc_lo, v44, v7, vcc_lo
	v_add_co_u32 v12, vcc_lo, v43, v12
	s_wait_alu 0xfffd
	v_add_co_ci_u32_e32 v13, vcc_lo, v44, v13, vcc_lo
	s_clause 0x4
	global_store_b64 v[8:9], v[20:21], off
	global_store_b64 v[4:5], v[24:25], off
	;; [unrolled: 1-line block ×5, first 2 shown]
.LBB0_19:
	s_nop 0
	s_sendmsg sendmsg(MSG_DEALLOC_VGPRS)
	s_endpgm
	.section	.rodata,"a",@progbits
	.p2align	6, 0x0
	.amdhsa_kernel fft_rtc_back_len1683_factors_17_3_11_3_wgs_51_tpt_51_halfLds_sp_ip_CI_sbrr_dirReg
		.amdhsa_group_segment_fixed_size 0
		.amdhsa_private_segment_fixed_size 0
		.amdhsa_kernarg_size 88
		.amdhsa_user_sgpr_count 2
		.amdhsa_user_sgpr_dispatch_ptr 0
		.amdhsa_user_sgpr_queue_ptr 0
		.amdhsa_user_sgpr_kernarg_segment_ptr 1
		.amdhsa_user_sgpr_dispatch_id 0
		.amdhsa_user_sgpr_private_segment_size 0
		.amdhsa_wavefront_size32 1
		.amdhsa_uses_dynamic_stack 0
		.amdhsa_enable_private_segment 0
		.amdhsa_system_sgpr_workgroup_id_x 1
		.amdhsa_system_sgpr_workgroup_id_y 0
		.amdhsa_system_sgpr_workgroup_id_z 0
		.amdhsa_system_sgpr_workgroup_info 0
		.amdhsa_system_vgpr_workitem_id 0
		.amdhsa_next_free_vgpr 146
		.amdhsa_next_free_sgpr 35
		.amdhsa_reserve_vcc 1
		.amdhsa_float_round_mode_32 0
		.amdhsa_float_round_mode_16_64 0
		.amdhsa_float_denorm_mode_32 3
		.amdhsa_float_denorm_mode_16_64 3
		.amdhsa_fp16_overflow 0
		.amdhsa_workgroup_processor_mode 1
		.amdhsa_memory_ordered 1
		.amdhsa_forward_progress 0
		.amdhsa_round_robin_scheduling 0
		.amdhsa_exception_fp_ieee_invalid_op 0
		.amdhsa_exception_fp_denorm_src 0
		.amdhsa_exception_fp_ieee_div_zero 0
		.amdhsa_exception_fp_ieee_overflow 0
		.amdhsa_exception_fp_ieee_underflow 0
		.amdhsa_exception_fp_ieee_inexact 0
		.amdhsa_exception_int_div_zero 0
	.end_amdhsa_kernel
	.text
.Lfunc_end0:
	.size	fft_rtc_back_len1683_factors_17_3_11_3_wgs_51_tpt_51_halfLds_sp_ip_CI_sbrr_dirReg, .Lfunc_end0-fft_rtc_back_len1683_factors_17_3_11_3_wgs_51_tpt_51_halfLds_sp_ip_CI_sbrr_dirReg
                                        ; -- End function
	.section	.AMDGPU.csdata,"",@progbits
; Kernel info:
; codeLenInByte = 30100
; NumSgprs: 37
; NumVgprs: 146
; ScratchSize: 0
; MemoryBound: 0
; FloatMode: 240
; IeeeMode: 1
; LDSByteSize: 0 bytes/workgroup (compile time only)
; SGPRBlocks: 4
; VGPRBlocks: 18
; NumSGPRsForWavesPerEU: 37
; NumVGPRsForWavesPerEU: 146
; Occupancy: 9
; WaveLimiterHint : 1
; COMPUTE_PGM_RSRC2:SCRATCH_EN: 0
; COMPUTE_PGM_RSRC2:USER_SGPR: 2
; COMPUTE_PGM_RSRC2:TRAP_HANDLER: 0
; COMPUTE_PGM_RSRC2:TGID_X_EN: 1
; COMPUTE_PGM_RSRC2:TGID_Y_EN: 0
; COMPUTE_PGM_RSRC2:TGID_Z_EN: 0
; COMPUTE_PGM_RSRC2:TIDIG_COMP_CNT: 0
	.text
	.p2alignl 7, 3214868480
	.fill 96, 4, 3214868480
	.type	__hip_cuid_d5fcbabd9b57bbb0,@object ; @__hip_cuid_d5fcbabd9b57bbb0
	.section	.bss,"aw",@nobits
	.globl	__hip_cuid_d5fcbabd9b57bbb0
__hip_cuid_d5fcbabd9b57bbb0:
	.byte	0                               ; 0x0
	.size	__hip_cuid_d5fcbabd9b57bbb0, 1

	.ident	"AMD clang version 19.0.0git (https://github.com/RadeonOpenCompute/llvm-project roc-6.4.0 25133 c7fe45cf4b819c5991fe208aaa96edf142730f1d)"
	.section	".note.GNU-stack","",@progbits
	.addrsig
	.addrsig_sym __hip_cuid_d5fcbabd9b57bbb0
	.amdgpu_metadata
---
amdhsa.kernels:
  - .args:
      - .actual_access:  read_only
        .address_space:  global
        .offset:         0
        .size:           8
        .value_kind:     global_buffer
      - .offset:         8
        .size:           8
        .value_kind:     by_value
      - .actual_access:  read_only
        .address_space:  global
        .offset:         16
        .size:           8
        .value_kind:     global_buffer
      - .actual_access:  read_only
        .address_space:  global
        .offset:         24
        .size:           8
        .value_kind:     global_buffer
      - .offset:         32
        .size:           8
        .value_kind:     by_value
      - .actual_access:  read_only
        .address_space:  global
        .offset:         40
        .size:           8
        .value_kind:     global_buffer
      - .actual_access:  read_only
        .address_space:  global
        .offset:         48
        .size:           8
        .value_kind:     global_buffer
      - .offset:         56
        .size:           4
        .value_kind:     by_value
      - .actual_access:  read_only
        .address_space:  global
        .offset:         64
        .size:           8
        .value_kind:     global_buffer
      - .actual_access:  read_only
        .address_space:  global
        .offset:         72
        .size:           8
        .value_kind:     global_buffer
      - .address_space:  global
        .offset:         80
        .size:           8
        .value_kind:     global_buffer
    .group_segment_fixed_size: 0
    .kernarg_segment_align: 8
    .kernarg_segment_size: 88
    .language:       OpenCL C
    .language_version:
      - 2
      - 0
    .max_flat_workgroup_size: 51
    .name:           fft_rtc_back_len1683_factors_17_3_11_3_wgs_51_tpt_51_halfLds_sp_ip_CI_sbrr_dirReg
    .private_segment_fixed_size: 0
    .sgpr_count:     37
    .sgpr_spill_count: 0
    .symbol:         fft_rtc_back_len1683_factors_17_3_11_3_wgs_51_tpt_51_halfLds_sp_ip_CI_sbrr_dirReg.kd
    .uniform_work_group_size: 1
    .uses_dynamic_stack: false
    .vgpr_count:     146
    .vgpr_spill_count: 0
    .wavefront_size: 32
    .workgroup_processor_mode: 1
amdhsa.target:   amdgcn-amd-amdhsa--gfx1201
amdhsa.version:
  - 1
  - 2
...

	.end_amdgpu_metadata
